;; amdgpu-corpus repo=ROCm/rocFFT kind=compiled arch=gfx906 opt=O3
	.text
	.amdgcn_target "amdgcn-amd-amdhsa--gfx906"
	.amdhsa_code_object_version 6
	.protected	bluestein_single_back_len1089_dim1_half_op_CI_CI ; -- Begin function bluestein_single_back_len1089_dim1_half_op_CI_CI
	.globl	bluestein_single_back_len1089_dim1_half_op_CI_CI
	.p2align	8
	.type	bluestein_single_back_len1089_dim1_half_op_CI_CI,@function
bluestein_single_back_len1089_dim1_half_op_CI_CI: ; @bluestein_single_back_len1089_dim1_half_op_CI_CI
; %bb.0:
	s_load_dwordx4 s[16:19], s[4:5], 0x28
	v_mul_u32_u24_e32 v1, 0x21e, v0
	v_add_u32_sdwa v16, s6, v1 dst_sel:DWORD dst_unused:UNUSED_PAD src0_sel:DWORD src1_sel:WORD_1
	v_mov_b32_e32 v17, 0
	s_waitcnt lgkmcnt(0)
	v_cmp_gt_u64_e32 vcc, s[16:17], v[16:17]
	s_and_saveexec_b64 s[0:1], vcc
	s_cbranch_execz .LBB0_18
; %bb.1:
	s_load_dwordx4 s[0:3], s[4:5], 0x18
	s_load_dwordx4 s[12:15], s[4:5], 0x0
                                        ; implicit-def: $vgpr29
                                        ; implicit-def: $vgpr28
                                        ; implicit-def: $vgpr49
	s_waitcnt lgkmcnt(0)
	s_load_dwordx4 s[8:11], s[0:1], 0x0
	s_movk_i32 s0, 0x79
	v_mul_lo_u16_sdwa v1, v1, s0 dst_sel:DWORD dst_unused:UNUSED_PAD src0_sel:WORD_1 src1_sel:DWORD
	v_sub_u16_e32 v46, v0, v1
	v_lshlrev_b32_e32 v37, 2, v46
	s_waitcnt lgkmcnt(0)
	v_mad_u64_u32 v[0:1], s[6:7], s10, v16, 0
	v_mad_u64_u32 v[2:3], s[6:7], s8, v46, 0
	s_mul_i32 s1, s9, 0x5ac
	s_mul_i32 s10, s8, 0x5ac
	v_mad_u64_u32 v[4:5], s[6:7], s11, v16, v[1:2]
	global_load_dword v47, v37, s[12:13]
	v_mad_u64_u32 v[5:6], s[6:7], s9, v46, v[3:4]
	v_mov_b32_e32 v1, v4
	v_lshlrev_b64 v[0:1], 2, v[0:1]
	v_mov_b32_e32 v6, s19
	v_mov_b32_e32 v3, v5
	v_add_co_u32_e32 v4, vcc, s18, v0
	v_addc_co_u32_e32 v5, vcc, v6, v1, vcc
	v_lshlrev_b64 v[0:1], 2, v[2:3]
	s_mul_hi_u32 s6, s8, 0x5ac
	v_add_co_u32_e32 v0, vcc, v4, v0
	v_addc_co_u32_e32 v1, vcc, v5, v1, vcc
	s_add_i32 s1, s6, s1
	v_mov_b32_e32 v3, s1
	v_add_co_u32_e32 v2, vcc, s10, v0
	v_addc_co_u32_e32 v3, vcc, v1, v3, vcc
	global_load_dword v4, v[0:1], off
	global_load_dword v5, v[2:3], off
	global_load_dword v45, v37, s[12:13] offset:1452
	v_mov_b32_e32 v1, s1
	v_add_co_u32_e32 v0, vcc, s10, v2
	v_addc_co_u32_e32 v1, vcc, v3, v1, vcc
	v_mov_b32_e32 v3, 0xfffff68c
	global_load_dword v2, v[0:1], off
	global_load_dword v44, v37, s[12:13] offset:2904
	v_mad_u64_u32 v[0:1], s[6:7], s8, v3, v[0:1]
	s_mul_i32 s6, s9, 0xfffff68c
	s_sub_i32 s9, s6, s8
	v_add_u32_e32 v1, s9, v1
	global_load_dword v6, v[0:1], off
	global_load_dword v43, v37, s[12:13] offset:484
	v_mov_b32_e32 v7, s1
	v_add_co_u32_e32 v0, vcc, s10, v0
	v_addc_co_u32_e32 v1, vcc, v1, v7, vcc
	global_load_dword v7, v[0:1], off
	global_load_dword v42, v37, s[12:13] offset:1936
	v_mov_b32_e32 v8, s1
	v_add_co_u32_e32 v0, vcc, s10, v0
	v_addc_co_u32_e32 v1, vcc, v1, v8, vcc
	global_load_dword v8, v[0:1], off
	v_mad_u64_u32 v[0:1], s[6:7], s8, v3, v[0:1]
	global_load_dword v41, v37, s[12:13] offset:3388
	v_mov_b32_e32 v9, s1
	v_add_u32_e32 v1, s9, v1
	global_load_dword v3, v[0:1], off
	global_load_dword v39, v37, s[12:13] offset:2420
	global_load_dword v40, v37, s[12:13] offset:968
	v_add_co_u32_e32 v0, vcc, s10, v0
	v_addc_co_u32_e32 v1, vcc, v1, v9, vcc
	global_load_dword v9, v[0:1], off
	v_mov_b32_e32 v10, s1
	v_add_co_u32_e32 v0, vcc, s10, v0
	v_addc_co_u32_e32 v1, vcc, v1, v10, vcc
	global_load_dword v10, v[0:1], off
	global_load_dword v38, v37, s[12:13] offset:3872
	s_load_dwordx4 s[8:11], s[2:3], 0x0
	s_movk_i32 s1, 0x3aee
	s_mov_b32 s6, 0xffff
	v_add_co_u32_e32 v21, vcc, s0, v46
	s_load_dwordx2 s[2:3], s[4:5], 0x38
	s_movk_i32 s0, 0xf2
	v_add_co_u32_e32 v23, vcc, s0, v46
	s_movk_i32 s0, 0x63
	s_waitcnt vmcnt(16)
	v_lshrrev_b32_e32 v0, 16, v4
	v_mul_f16_sdwa v1, v47, v4 dst_sel:DWORD dst_unused:UNUSED_PAD src0_sel:WORD_1 src1_sel:DWORD
	v_mul_f16_sdwa v11, v47, v0 dst_sel:DWORD dst_unused:UNUSED_PAD src0_sel:WORD_1 src1_sel:DWORD
	v_fma_f16 v0, v47, v0, -v1
	s_waitcnt vmcnt(15)
	v_lshrrev_b32_e32 v1, 16, v5
	s_waitcnt vmcnt(14)
	v_mul_f16_sdwa v12, v45, v5 dst_sel:DWORD dst_unused:UNUSED_PAD src0_sel:WORD_1 src1_sel:DWORD
	v_fma_f16 v4, v47, v4, v11
	v_mul_f16_sdwa v11, v45, v1 dst_sel:DWORD dst_unused:UNUSED_PAD src0_sel:WORD_1 src1_sel:DWORD
	v_fma_f16 v1, v45, v1, -v12
	s_waitcnt vmcnt(13)
	v_lshrrev_b32_e32 v12, 16, v2
	s_waitcnt vmcnt(12)
	v_mul_f16_sdwa v13, v44, v2 dst_sel:DWORD dst_unused:UNUSED_PAD src0_sel:WORD_1 src1_sel:DWORD
	v_pack_b32_f16 v0, v4, v0
	v_fma_f16 v4, v45, v5, v11
	v_mul_f16_sdwa v5, v44, v12 dst_sel:DWORD dst_unused:UNUSED_PAD src0_sel:WORD_1 src1_sel:DWORD
	v_fma_f16 v11, v44, v12, -v13
	v_pack_b32_f16 v1, v4, v1
	v_fma_f16 v2, v44, v2, v5
	ds_write_b32 v37, v1 offset:1452
	v_pack_b32_f16 v1, v2, v11
	ds_write_b32 v37, v1 offset:2904
	s_waitcnt vmcnt(11)
	v_lshrrev_b32_e32 v1, 16, v6
	s_waitcnt vmcnt(10)
	v_mul_f16_sdwa v2, v43, v1 dst_sel:DWORD dst_unused:UNUSED_PAD src0_sel:WORD_1 src1_sel:DWORD
	v_mul_f16_sdwa v4, v43, v6 dst_sel:DWORD dst_unused:UNUSED_PAD src0_sel:WORD_1 src1_sel:DWORD
	v_fma_f16 v2, v43, v6, v2
	v_fma_f16 v1, v43, v1, -v4
	v_pack_b32_f16 v1, v2, v1
	ds_write2_b32 v37, v0, v1 offset1:121
	s_waitcnt vmcnt(9)
	v_lshrrev_b32_e32 v0, 16, v7
	s_waitcnt vmcnt(8)
	v_mul_f16_sdwa v1, v42, v0 dst_sel:DWORD dst_unused:UNUSED_PAD src0_sel:WORD_1 src1_sel:DWORD
	v_mul_f16_sdwa v2, v42, v7 dst_sel:DWORD dst_unused:UNUSED_PAD src0_sel:WORD_1 src1_sel:DWORD
	v_fma_f16 v1, v42, v7, v1
	v_fma_f16 v0, v42, v0, -v2
	v_pack_b32_f16 v0, v1, v0
	s_waitcnt vmcnt(7)
	v_lshrrev_b32_e32 v1, 16, v8
	s_waitcnt vmcnt(6)
	v_mul_f16_sdwa v2, v41, v1 dst_sel:DWORD dst_unused:UNUSED_PAD src0_sel:WORD_1 src1_sel:DWORD
	v_mul_f16_sdwa v4, v41, v8 dst_sel:DWORD dst_unused:UNUSED_PAD src0_sel:WORD_1 src1_sel:DWORD
	v_fma_f16 v2, v41, v8, v2
	v_fma_f16 v1, v41, v1, -v4
	v_pack_b32_f16 v1, v2, v1
	s_waitcnt vmcnt(5)
	v_lshrrev_b32_e32 v2, 16, v3
	s_waitcnt vmcnt(3)
	v_mul_f16_sdwa v4, v40, v2 dst_sel:DWORD dst_unused:UNUSED_PAD src0_sel:WORD_1 src1_sel:DWORD
	v_fma_f16 v4, v40, v3, v4
	v_mul_f16_sdwa v3, v40, v3 dst_sel:DWORD dst_unused:UNUSED_PAD src0_sel:WORD_1 src1_sel:DWORD
	v_fma_f16 v2, v40, v2, -v3
	v_pack_b32_f16 v2, v4, v2
	ds_write_b32 v37, v2 offset:968
	s_waitcnt vmcnt(2)
	v_lshrrev_b32_e32 v2, 16, v9
	v_mul_f16_sdwa v3, v39, v2 dst_sel:DWORD dst_unused:UNUSED_PAD src0_sel:WORD_1 src1_sel:DWORD
	v_mul_f16_sdwa v4, v39, v9 dst_sel:DWORD dst_unused:UNUSED_PAD src0_sel:WORD_1 src1_sel:DWORD
	v_fma_f16 v3, v39, v9, v3
	v_fma_f16 v2, v39, v2, -v4
	v_pack_b32_f16 v2, v3, v2
	v_add_u32_e32 v8, 0x600, v37
	ds_write2_b32 v8, v0, v2 offset0:100 offset1:221
	s_waitcnt vmcnt(1)
	v_lshrrev_b32_e32 v0, 16, v10
	s_waitcnt vmcnt(0)
	v_mul_f16_sdwa v2, v38, v0 dst_sel:DWORD dst_unused:UNUSED_PAD src0_sel:WORD_1 src1_sel:DWORD
	v_mul_f16_sdwa v3, v38, v10 dst_sel:DWORD dst_unused:UNUSED_PAD src0_sel:WORD_1 src1_sel:DWORD
	v_fma_f16 v2, v38, v10, v2
	v_fma_f16 v0, v38, v0, -v3
	v_pack_b32_f16 v2, v2, v0
	v_add_u32_e32 v0, 0xc00, v37
	ds_write2_b32 v0, v1, v2 offset0:79 offset1:200
	v_add_u32_e32 v1, 0x200, v37
	s_waitcnt lgkmcnt(0)
	s_barrier
	ds_read2_b32 v[2:3], v1 offset0:114 offset1:235
	v_add_u32_e32 v4, 0xa00, v37
	ds_read2_b32 v[4:5], v4 offset0:86 offset1:207
	ds_read2_b32 v[6:7], v37 offset1:121
	ds_read2_b32 v[13:14], v8 offset0:100 offset1:221
	ds_read_b32 v12, v37 offset:3872
	v_mul_lo_u16_e32 v8, 3, v46
	v_lshlrev_b32_e32 v50, 2, v8
	s_waitcnt lgkmcnt(3)
	v_pk_add_f16 v9, v3, v4
	s_waitcnt lgkmcnt(2)
	v_pk_fma_f16 v10, v9, 0.5, v6 op_sel_hi:[1,0,1] neg_lo:[1,0,0] neg_hi:[1,0,0]
	v_pk_add_f16 v9, v3, v4 neg_lo:[0,1] neg_hi:[0,1]
	v_pk_mul_f16 v11, v9, s1 op_sel_hi:[1,0]
	v_pk_add_f16 v9, v10, v11 op_sel:[0,1] op_sel_hi:[1,0]
	v_pk_add_f16 v11, v10, v11 op_sel:[0,1] op_sel_hi:[1,0] neg_lo:[0,1] neg_hi:[0,1]
	v_bfi_b32 v8, s6, v11, v9
	v_bfi_b32 v10, s6, v9, v11
	v_pk_add_f16 v3, v6, v3
	s_waitcnt lgkmcnt(0)
	s_barrier
	ds_write2_b32 v50, v10, v8 offset0:1 offset1:2
	v_pk_add_f16 v8, v3, v4
	v_pk_add_f16 v3, v13, v5
	v_pk_add_f16 v4, v13, v5 neg_lo:[0,1] neg_hi:[0,1]
	v_pk_fma_f16 v3, v3, 0.5, v7 op_sel_hi:[1,0,1] neg_lo:[1,0,0] neg_hi:[1,0,0]
	v_pk_mul_f16 v4, v4, s1 op_sel_hi:[1,0]
	v_pk_add_f16 v22, v3, v4 op_sel:[0,1] op_sel_hi:[1,0] neg_lo:[0,1] neg_hi:[0,1]
	v_pk_add_f16 v10, v3, v4 op_sel:[0,1] op_sel_hi:[1,0]
	v_mul_u32_u24_e32 v3, 3, v21
	v_lshlrev_b32_e32 v51, 2, v3
	v_bfi_b32 v3, s6, v22, v10
	v_bfi_b32 v4, s6, v10, v22
	ds_write_b32 v50, v8
	ds_write2_b32 v51, v4, v3 offset0:1 offset1:2
	v_pk_add_f16 v3, v7, v13
	v_pk_add_f16 v13, v3, v5
	;; [unrolled: 1-line block ×3, first 2 shown]
	v_pk_fma_f16 v3, v3, 0.5, v2 op_sel_hi:[1,0,1] neg_lo:[1,0,0] neg_hi:[1,0,0]
	v_pk_add_f16 v2, v2, v14
	v_pk_add_f16 v4, v14, v12 neg_lo:[0,1] neg_hi:[0,1]
	v_pk_add_f16 v14, v2, v12
	v_pk_mul_f16 v2, v4, s1 op_sel_hi:[1,0]
	v_pk_add_f16 v15, v3, v2 op_sel:[0,1] op_sel_hi:[1,0]
	v_mul_u32_u24_e32 v4, 3, v23
	v_pk_add_f16 v19, v3, v2 op_sel:[0,1] op_sel_hi:[1,0] neg_lo:[0,1] neg_hi:[0,1]
	v_lshlrev_b32_e32 v52, 2, v4
	v_bfi_b32 v2, s6, v19, v15
	v_bfi_b32 v3, s6, v15, v19
	v_cmp_gt_u16_e64 s[0:1], s0, v46
	v_lshrrev_b32_e32 v27, 16, v9
	v_lshrrev_b32_e32 v24, 16, v10
	;; [unrolled: 1-line block ×4, first 2 shown]
	ds_write_b32 v51, v13
	ds_write2_b32 v52, v3, v2 offset0:1 offset1:2
	ds_write_b32 v52, v14
	s_waitcnt lgkmcnt(0)
	s_barrier
	s_and_saveexec_b64 s[4:5], s[0:1]
	s_cbranch_execz .LBB0_3
; %bb.2:
	ds_read2_b32 v[8:9], v37 offset1:99
	ds_read2_b32 v[12:13], v1 offset0:70 offset1:169
	v_add_u32_e32 v1, 0x400, v37
	ds_read2_b32 v[10:11], v1 offset0:140 offset1:239
	v_add_u32_e32 v1, 0x800, v37
	ds_read2_b32 v[14:15], v1 offset0:82 offset1:181
	ds_read2_b32 v[19:20], v0 offset0:24 offset1:123
	ds_read_b32 v28, v37 offset:3960
	s_waitcnt lgkmcnt(4)
	v_lshrrev_b32_e32 v27, 16, v12
	s_waitcnt lgkmcnt(3)
	v_lshrrev_b32_e32 v24, 16, v11
	;; [unrolled: 2-line block ×4, first 2 shown]
	v_lshrrev_b32_e32 v29, 16, v20
	s_waitcnt lgkmcnt(0)
	v_lshrrev_b32_e32 v49, 16, v28
	v_bfi_b32 v22, s6, v11, v10
	v_bfi_b32 v11, s6, v12, v9
.LBB0_3:
	s_or_b64 exec, exec, s[4:5]
	s_movk_i32 s4, 0xab
	v_mul_lo_u16_sdwa v0, v46, s4 dst_sel:DWORD dst_unused:UNUSED_PAD src0_sel:BYTE_0 src1_sel:DWORD
	v_lshrrev_b16_e32 v94, 9, v0
	v_mul_lo_u16_e32 v0, 3, v94
	v_sub_u16_e32 v0, v46, v0
	v_and_b32_e32 v48, 0xff, v0
	v_mul_u32_u24_e32 v0, 10, v48
	v_lshlrev_b32_e32 v12, 2, v0
	global_load_dwordx4 v[0:3], v12, s[14:15]
	global_load_dwordx4 v[4:7], v12, s[14:15] offset:16
	global_load_dwordx2 v[17:18], v12, s[14:15] offset:32
	v_lshrrev_b32_e32 v36, 16, v22
	v_lshrrev_b32_e32 v12, 16, v13
	;; [unrolled: 1-line block ×4, first 2 shown]
	s_movk_i32 s6, 0x3abb
	s_movk_i32 s7, 0x36a6
	s_mov_b32 s16, 0xb93d
	s_mov_b32 s17, 0xb08e
	;; [unrolled: 1-line block ×3, first 2 shown]
	s_waitcnt vmcnt(0)
	s_barrier
	v_mul_f16_sdwa v31, v36, v3 dst_sel:DWORD dst_unused:UNUSED_PAD src0_sel:DWORD src1_sel:WORD_1
	v_mul_f16_sdwa v33, v26, v6 dst_sel:DWORD dst_unused:UNUSED_PAD src0_sel:DWORD src1_sel:WORD_1
	;; [unrolled: 1-line block ×17, first 2 shown]
	v_fma_f16 v35, v10, v3, -v31
	v_fma_f16 v31, v15, v6, -v33
	;; [unrolled: 1-line block ×3, first 2 shown]
	v_fma_f16 v20, v24, v4, v64
	v_fma_f16 v24, v26, v6, v58
	v_fma_f16 v26, v29, v17, v62
	v_fma_f16 v29, v49, v18, v66
	v_fma_f16 v55, v55, v0, v69
	v_mul_f16_sdwa v61, v19, v7 dst_sel:DWORD dst_unused:UNUSED_PAD src0_sel:DWORD src1_sel:WORD_1
	v_mul_f16_sdwa v68, v27, v1 dst_sel:DWORD dst_unused:UNUSED_PAD src0_sel:DWORD src1_sel:WORD_1
	v_fma_f16 v34, v13, v2, -v30
	v_fma_f16 v30, v14, v5, -v32
	v_fma_f16 v14, v12, v2, v54
	v_fma_f16 v15, v36, v3, v56
	v_fma_f16 v36, v22, v4, -v63
	v_fma_f16 v22, v53, v5, v57
	v_fma_f16 v54, v28, v18, -v65
	;; [unrolled: 2-line block ×3, first 2 shown]
	v_sub_f16_e32 v73, v55, v29
	v_mul_f16_sdwa v59, v25, v7 dst_sel:DWORD dst_unused:UNUSED_PAD src0_sel:DWORD src1_sel:WORD_1
	v_fma_f16 v25, v25, v7, v61
	v_fma_f16 v61, v11, v1, -v68
	v_add_f16_e32 v9, v62, v54
	v_sub_f16_e32 v71, v53, v26
	v_sub_f16_e32 v80, v62, v54
	v_mul_f16_e32 v65, 0xb853, v73
	v_fma_f16 v32, v19, v7, -v59
	v_add_f16_e32 v10, v61, v33
	v_add_f16_e32 v12, v55, v29
	v_sub_f16_e32 v79, v61, v33
	v_sub_f16_e32 v76, v14, v25
	v_mul_f16_e32 v64, 0xbb47, v71
	v_mul_f16_e32 v68, 0xb853, v80
	;; [unrolled: 1-line block ×3, first 2 shown]
	v_fma_f16 v19, v9, s6, v65
	v_add_f16_e32 v13, v53, v26
	v_add_f16_e32 v11, v34, v32
	v_mul_f16_e32 v67, 0xbb47, v79
	v_mul_f16_e32 v69, 0xba0c, v71
	;; [unrolled: 1-line block ×3, first 2 shown]
	v_fma_f16 v27, v10, s7, v64
	v_fma_f16 v28, v12, s6, -v68
	v_fma_f16 v56, v9, s7, v70
	v_add_f16_e32 v19, v8, v19
	v_fma_f16 v49, v13, s7, -v67
	v_fma_f16 v57, v10, s16, v69
	v_fma_f16 v60, v11, s17, v66
	v_add_f16_sdwa v28, v8, v28 dst_sel:DWORD dst_unused:UNUSED_PAD src0_sel:WORD_1 src1_sel:DWORD
	v_add_f16_e32 v56, v8, v56
	v_add_f16_e32 v19, v27, v19
	v_sub_f16_e32 v88, v34, v32
	v_mul_f16_e32 v74, 0xbb47, v80
	v_add_f16_e32 v27, v49, v28
	v_add_f16_e32 v28, v57, v56
	;; [unrolled: 1-line block ×4, first 2 shown]
	v_mul_f16_e32 v75, 0xbbeb, v88
	v_mul_f16_e32 v72, 0xba0c, v79
	v_fma_f16 v58, v12, s7, -v74
	v_fma_f16 v57, v19, s17, -v75
	v_mul_f16_e32 v78, 0x3482, v76
	v_fma_f16 v59, v13, s16, -v72
	v_add_f16_sdwa v58, v8, v58 dst_sel:DWORD dst_unused:UNUSED_PAD src0_sel:WORD_1 src1_sel:DWORD
	v_add_f16_e32 v57, v57, v27
	v_fma_f16 v27, v11, s18, v78
	v_mul_f16_e32 v83, 0x3482, v88
	v_add_f16_e32 v49, v59, v58
	v_add_f16_e32 v28, v27, v28
	v_fma_f16 v27, v19, s18, -v83
	v_sub_f16_e32 v86, v15, v24
	v_add_f16_e32 v49, v27, v49
	v_add_f16_e32 v27, v35, v31
	v_mul_f16_e32 v77, 0xba0c, v86
	v_sub_f16_e32 v92, v35, v31
	v_fma_f16 v58, v27, s16, v77
	v_add_f16_e32 v59, v15, v24
	v_mul_f16_e32 v81, 0xba0c, v92
	v_add_f16_e32 v56, v58, v56
	v_fma_f16 v58, v59, s16, -v81
	v_mul_f16_e32 v84, 0x3beb, v86
	v_add_f16_e32 v57, v58, v57
	v_fma_f16 v58, v27, s17, v84
	v_mul_f16_e32 v87, 0x3beb, v92
	v_sub_f16_e32 v90, v20, v22
	v_add_f16_e32 v28, v58, v28
	v_fma_f16 v58, v59, s17, -v87
	v_add_f16_e32 v60, v36, v30
	v_mul_f16_e32 v82, 0xb482, v90
	v_sub_f16_e32 v93, v36, v30
	v_add_f16_e32 v49, v58, v49
	v_fma_f16 v58, v60, s18, v82
	v_add_f16_e32 v63, v20, v22
	v_mul_f16_e32 v85, 0xb482, v93
	v_add_f16_e32 v56, v58, v56
	v_fma_f16 v58, v63, s18, -v85
	v_mul_f16_e32 v91, 0x3853, v93
	v_add_f16_e32 v57, v58, v57
	v_fma_f16 v58, v63, s6, -v91
	v_mul_f16_e32 v89, 0x3853, v90
	v_add_f16_e32 v58, v58, v49
	v_fma_f16 v49, v60, s6, v89
	v_add_f16_e32 v28, v49, v28
	v_mul_u32_u24_e32 v49, 33, v94
	s_and_saveexec_b64 s[4:5], s[0:1]
	s_cbranch_execz .LBB0_5
; %bb.4:
	v_mul_f16_e32 v114, 0xb482, v80
	v_fma_f16 v115, v12, s18, v114
	v_mul_f16_e32 v116, 0x3853, v79
	v_add_f16_sdwa v115, v8, v115 dst_sel:DWORD dst_unused:UNUSED_PAD src0_sel:WORD_1 src1_sel:DWORD
	v_fma_f16 v117, v13, s6, v116
	v_add_f16_e32 v115, v117, v115
	v_mul_f16_e32 v117, 0xba0c, v88
	v_fma_f16 v118, v19, s16, v117
	v_add_f16_e32 v115, v118, v115
	v_mul_f16_e32 v118, 0x3b47, v92
	;; [unrolled: 3-line block ×4, first 2 shown]
	v_fma_f16 v121, v9, s18, -v120
	v_mul_f16_e32 v122, 0x3853, v71
	v_add_f16_e32 v121, v8, v121
	v_fma_f16 v123, v10, s6, -v122
	v_add_f16_e32 v121, v123, v121
	v_mul_f16_e32 v123, 0xba0c, v76
	v_fma_f16 v124, v11, s16, -v123
	v_add_f16_e32 v121, v124, v121
	v_mul_f16_e32 v124, 0x3b47, v86
	;; [unrolled: 3-line block ×3, first 2 shown]
	v_fma_f16 v126, v60, s17, -v125
	v_add_f16_e32 v62, v8, v62
	v_add_f16_e32 v121, v126, v121
	v_mul_f16_e32 v126, 0xba0c, v80
	v_add_f16_e32 v61, v62, v61
	v_fma_f16 v127, v12, s16, v126
	v_mul_f16_e32 v128, 0x3beb, v79
	v_add_f16_e32 v34, v61, v34
	v_add_f16_sdwa v127, v8, v127 dst_sel:DWORD dst_unused:UNUSED_PAD src0_sel:WORD_1 src1_sel:DWORD
	v_fma_f16 v129, v13, s17, v128
	v_add_f16_e32 v34, v34, v35
	v_add_f16_e32 v127, v129, v127
	v_mul_f16_e32 v129, 0xb853, v88
	v_add_f16_e32 v34, v34, v36
	v_fma_f16 v130, v19, s6, v129
	v_add_f16_e32 v30, v34, v30
	v_add_f16_e32 v127, v130, v127
	v_mul_f16_e32 v130, 0xb482, v92
	v_add_f16_e32 v30, v30, v31
	v_add_f16_sdwa v31, v8, v55 dst_sel:DWORD dst_unused:UNUSED_PAD src0_sel:WORD_1 src1_sel:DWORD
	v_fma_f16 v131, v59, s18, v130
	v_add_f16_e32 v31, v31, v53
	v_add_f16_e32 v127, v131, v127
	v_mul_f16_e32 v131, 0x3b47, v93
	v_add_f16_e32 v14, v31, v14
	v_fma_f16 v132, v63, s7, v131
	v_add_f16_e32 v14, v14, v15
	v_fma_f16 v15, v12, s18, -v114
	v_add_f16_e32 v127, v132, v127
	v_mul_f16_e32 v132, 0xba0c, v73
	v_add_f16_e32 v14, v14, v20
	v_add_f16_sdwa v15, v8, v15 dst_sel:DWORD dst_unused:UNUSED_PAD src0_sel:WORD_1 src1_sel:DWORD
	v_fma_f16 v20, v13, s6, -v116
	v_fma_f16 v133, v9, s16, -v132
	v_mul_f16_e32 v134, 0x3beb, v71
	v_add_f16_e32 v15, v20, v15
	v_fma_f16 v20, v19, s16, -v117
	v_add_f16_e32 v133, v8, v133
	v_fma_f16 v135, v10, s17, -v134
	;; [unrolled: 2-line block ×3, first 2 shown]
	v_add_f16_e32 v133, v135, v133
	v_mul_f16_e32 v135, 0xb853, v76
	v_add_f16_e32 v15, v20, v15
	v_fma_f16 v20, v63, s17, -v119
	v_fma_f16 v136, v11, s6, -v135
	v_add_f16_e32 v15, v20, v15
	v_fma_f16 v20, v9, s18, v120
	v_add_f16_e32 v133, v136, v133
	v_mul_f16_e32 v136, 0xb482, v86
	v_add_f16_e32 v14, v14, v22
	v_add_f16_e32 v20, v8, v20
	v_fma_f16 v22, v10, s6, v122
	v_fma_f16 v137, v27, s18, -v136
	v_add_f16_e32 v20, v22, v20
	v_fma_f16 v22, v11, s16, v123
	v_add_f16_e32 v133, v137, v133
	v_mul_f16_e32 v137, 0x3b47, v90
	v_add_f16_e32 v20, v22, v20
	v_fma_f16 v22, v27, s7, v124
	v_fma_f16 v138, v60, s7, -v137
	v_mul_f16_e32 v80, 0xbbeb, v80
	v_add_f16_e32 v20, v22, v20
	v_fma_f16 v22, v60, s17, v125
	v_add_f16_e32 v133, v138, v133
	v_fma_f16 v138, v12, s17, v80
	v_mul_f16_e32 v79, 0x3482, v79
	v_add_f16_e32 v20, v22, v20
	v_fma_f16 v22, v12, s16, -v126
	v_add_f16_sdwa v138, v8, v138 dst_sel:DWORD dst_unused:UNUSED_PAD src0_sel:WORD_1 src1_sel:DWORD
	v_fma_f16 v139, v13, s18, v79
	v_mul_f16_e32 v88, 0x3b47, v88
	v_add_f16_e32 v14, v14, v24
	v_add_f16_sdwa v22, v8, v22 dst_sel:DWORD dst_unused:UNUSED_PAD src0_sel:WORD_1 src1_sel:DWORD
	v_fma_f16 v24, v13, s17, -v128
	v_add_f16_e32 v138, v139, v138
	v_fma_f16 v139, v19, s7, v88
	v_mul_f16_e32 v92, 0xb853, v92
	v_add_f16_e32 v22, v24, v22
	v_fma_f16 v24, v19, s6, -v129
	v_mul_f16_e32 v94, 0x3abb, v9
	v_mul_f16_e32 v95, 0x3abb, v12
	v_add_f16_e32 v138, v139, v138
	v_fma_f16 v139, v59, s6, v92
	v_mul_f16_e32 v93, 0xba0c, v93
	v_add_f16_e32 v22, v24, v22
	v_fma_f16 v24, v59, s18, -v130
	v_mul_f16_e32 v96, 0x36a6, v9
	v_mul_f16_e32 v97, 0x36a6, v12
	;; [unrolled: 1-line block ×4, first 2 shown]
	v_add_f16_e32 v138, v139, v138
	v_fma_f16 v139, v63, s16, v93
	v_mul_f16_e32 v73, 0xbbeb, v73
	v_add_f16_e32 v68, v68, v95
	v_sub_f16_e32 v65, v94, v65
	v_add_f16_e32 v22, v24, v22
	v_fma_f16 v24, v63, s7, -v131
	v_mul_f16_e32 v100, 0xb93d, v10
	v_mul_f16_e32 v101, 0xb93d, v13
	;; [unrolled: 1-line block ×4, first 2 shown]
	v_add_f16_e32 v138, v139, v138
	v_fma_f16 v139, v9, s17, -v73
	v_mul_f16_e32 v71, 0x3482, v71
	v_add_f16_e32 v74, v74, v97
	v_sub_f16_e32 v70, v96, v70
	v_add_f16_sdwa v68, v8, v68 dst_sel:DWORD dst_unused:UNUSED_PAD src0_sel:WORD_1 src1_sel:DWORD
	v_add_f16_e32 v67, v67, v99
	v_add_f16_e32 v65, v8, v65
	v_sub_f16_e32 v64, v98, v64
	v_add_f16_e32 v22, v24, v22
	v_fma_f16 v24, v9, s16, v132
	v_fma_f16 v12, v12, s17, -v80
	v_fma_f16 v9, v9, s17, v73
	v_mul_f16_e32 v104, 0xbbad, v11
	v_mul_f16_e32 v105, 0xbbad, v19
	;; [unrolled: 1-line block ×4, first 2 shown]
	v_add_f16_e32 v139, v8, v139
	v_fma_f16 v140, v10, s18, -v71
	v_mul_f16_e32 v76, 0x3b47, v76
	v_add_f16_sdwa v74, v8, v74 dst_sel:DWORD dst_unused:UNUSED_PAD src0_sel:WORD_1 src1_sel:DWORD
	v_add_f16_e32 v72, v72, v101
	v_add_f16_e32 v70, v8, v70
	v_sub_f16_e32 v69, v100, v69
	v_add_f16_e32 v67, v67, v68
	v_add_f16_e32 v68, v75, v103
	;; [unrolled: 1-line block ×3, first 2 shown]
	v_sub_f16_e32 v65, v102, v66
	v_add_f16_e32 v24, v8, v24
	v_add_f16_sdwa v12, v8, v12 dst_sel:DWORD dst_unused:UNUSED_PAD src0_sel:WORD_1 src1_sel:DWORD
	v_add_f16_e32 v8, v8, v9
	v_fma_f16 v9, v10, s18, v71
	v_mul_f16_e32 v108, 0xb08e, v27
	v_mul_f16_e32 v109, 0xb08e, v59
	;; [unrolled: 1-line block ×4, first 2 shown]
	v_add_f16_e32 v139, v140, v139
	v_fma_f16 v140, v11, s7, -v76
	v_mul_f16_e32 v86, 0xb853, v86
	v_add_f16_e32 v72, v72, v74
	v_add_f16_e32 v74, v83, v105
	v_add_f16_e32 v69, v69, v70
	v_sub_f16_e32 v70, v104, v78
	v_add_f16_e32 v67, v68, v67
	v_add_f16_e32 v68, v81, v107
	;; [unrolled: 1-line block ×3, first 2 shown]
	v_sub_f16_e32 v65, v106, v77
	v_add_f16_e32 v30, v30, v32
	v_add_f16_e32 v14, v14, v25
	;; [unrolled: 1-line block ×3, first 2 shown]
	v_fma_f16 v9, v11, s7, v76
	v_mul_f16_e32 v112, 0x3abb, v60
	v_mul_f16_e32 v113, 0x3abb, v63
	v_add_f16_e32 v139, v140, v139
	v_fma_f16 v140, v27, s6, -v86
	v_mul_f16_e32 v90, 0xba0c, v90
	v_add_f16_e32 v72, v74, v72
	v_add_f16_e32 v74, v87, v109
	;; [unrolled: 1-line block ×3, first 2 shown]
	v_sub_f16_e32 v70, v108, v84
	v_add_f16_e32 v67, v68, v67
	v_add_f16_e32 v68, v85, v111
	v_add_f16_e32 v64, v65, v64
	v_sub_f16_e32 v65, v110, v82
	v_add_f16_e32 v30, v30, v33
	v_add_f16_e32 v14, v14, v26
	v_fma_f16 v25, v10, s17, v134
	v_add_f16_e32 v8, v9, v8
	v_fma_f16 v9, v27, s6, v86
	v_add_f16_e32 v139, v140, v139
	v_fma_f16 v140, v60, s16, -v90
	v_add_f16_e32 v72, v74, v72
	v_add_f16_e32 v74, v91, v113
	;; [unrolled: 1-line block ×3, first 2 shown]
	v_sub_f16_e32 v70, v112, v89
	v_add_f16_e32 v67, v68, v67
	v_add_f16_e32 v64, v65, v64
	;; [unrolled: 1-line block ×5, first 2 shown]
	v_fma_f16 v25, v11, s6, v135
	v_fma_f16 v13, v13, s18, -v79
	v_add_f16_e32 v8, v9, v8
	v_fma_f16 v9, v60, s16, v90
	v_add_f16_e32 v139, v140, v139
	v_add_f16_e32 v72, v74, v72
	;; [unrolled: 1-line block ×4, first 2 shown]
	v_fma_f16 v25, v27, s18, v136
	v_add_f16_e32 v12, v13, v12
	v_fma_f16 v13, v19, s7, -v88
	v_add_f16_e32 v8, v9, v8
	v_add_lshl_u32 v9, v49, v48, 2
	v_pack_b32_f16 v10, v30, v14
	v_pack_b32_f16 v11, v64, v67
	v_add_f16_e32 v24, v25, v24
	v_fma_f16 v25, v60, s7, v137
	v_add_f16_e32 v12, v13, v12
	v_fma_f16 v13, v59, s6, -v92
	ds_write2_b32 v9, v10, v11 offset1:3
	v_pack_b32_f16 v10, v69, v72
	v_pack_b32_f16 v11, v139, v138
	v_add_f16_e32 v24, v25, v24
	v_add_f16_e32 v12, v13, v12
	v_fma_f16 v13, v63, s16, -v93
	ds_write2_b32 v9, v10, v11 offset0:6 offset1:9
	v_pack_b32_f16 v10, v133, v127
	v_pack_b32_f16 v11, v121, v115
	v_add_f16_e32 v12, v13, v12
	ds_write2_b32 v9, v10, v11 offset0:12 offset1:15
	v_pack_b32_f16 v10, v20, v15
	v_pack_b32_f16 v11, v24, v22
	s_mov_b32 s6, 0x5040100
	ds_write2_b32 v9, v10, v11 offset0:18 offset1:21
	v_pack_b32_f16 v8, v8, v12
	v_perm_b32 v10, v58, v28, s6
	ds_write2_b32 v9, v8, v10 offset0:24 offset1:27
	v_perm_b32 v8, v57, v56, s6
	ds_write_b32 v9, v8 offset:120
.LBB0_5:
	s_or_b64 exec, exec, s[4:5]
	s_movk_i32 s4, 0xf9
	v_mul_lo_u16_sdwa v8, v46, s4 dst_sel:DWORD dst_unused:UNUSED_PAD src0_sel:BYTE_0 src1_sel:DWORD
	v_lshrrev_b16_e32 v15, 13, v8
	v_mul_lo_u16_sdwa v9, v21, s4 dst_sel:DWORD dst_unused:UNUSED_PAD src0_sel:BYTE_0 src1_sel:DWORD
	v_mul_lo_u16_e32 v8, 33, v15
	v_lshrrev_b16_e32 v54, 13, v9
	v_sub_u16_e32 v8, v46, v8
	v_mul_lo_u16_e32 v9, 33, v54
	v_and_b32_e32 v53, 0xff, v8
	v_sub_u16_e32 v9, v21, v9
	v_lshlrev_b32_e32 v8, 3, v53
	v_and_b32_e32 v55, 0xff, v9
	s_mov_b32 s4, 0xf83f
	s_waitcnt lgkmcnt(0)
	s_barrier
	v_lshlrev_b32_e32 v9, 3, v55
	global_load_dwordx2 v[21:22], v8, s[14:15] offset:120
	global_load_dwordx2 v[19:20], v9, s[14:15] offset:120
	v_mul_u32_u24_sdwa v8, v23, s4 dst_sel:DWORD dst_unused:UNUSED_PAD src0_sel:WORD_0 src1_sel:DWORD
	v_lshrrev_b32_e32 v67, 21, v8
	v_mul_lo_u16_e32 v8, 33, v67
	v_sub_u16_e32 v69, v23, v8
	v_lshlrev_b16_e32 v8, 3, v69
	v_mov_b32_e32 v9, s15
	v_add_co_u32_e32 v8, vcc, s14, v8
	v_addc_co_u32_e32 v9, vcc, 0, v9, vcc
	global_load_dwordx2 v[23:24], v[8:9], off offset:120
	v_add_u32_e32 v8, 0x200, v37
	v_add_u32_e32 v13, 0xa00, v37
	;; [unrolled: 1-line block ×3, first 2 shown]
	ds_read2_b32 v[9:10], v37 offset1:121
	ds_read_b32 v27, v37 offset:3872
	ds_read2_b32 v[11:12], v8 offset0:114 offset1:235
	ds_read2_b32 v[13:14], v13 offset0:86 offset1:207
	;; [unrolled: 1-line block ×3, first 2 shown]
	s_movk_i32 s4, 0x3aee
	s_mov_b32 s5, 0xbaee
	s_waitcnt lgkmcnt(2)
	v_lshrrev_b32_e32 v31, 16, v12
	s_waitcnt lgkmcnt(1)
	v_lshrrev_b32_e32 v32, 16, v13
	;; [unrolled: 2-line block ×3, first 2 shown]
	v_lshrrev_b32_e32 v34, 16, v14
	v_lshrrev_b32_e32 v29, 16, v27
	;; [unrolled: 1-line block ×6, first 2 shown]
	s_waitcnt vmcnt(0)
	s_barrier
	v_mul_f16_sdwa v59, v31, v21 dst_sel:DWORD dst_unused:UNUSED_PAD src0_sel:DWORD src1_sel:WORD_1
	v_mul_f16_sdwa v61, v32, v22 dst_sel:DWORD dst_unused:UNUSED_PAD src0_sel:DWORD src1_sel:WORD_1
	v_mul_f16_sdwa v60, v12, v21 dst_sel:DWORD dst_unused:UNUSED_PAD src0_sel:DWORD src1_sel:WORD_1
	v_mul_f16_sdwa v62, v13, v22 dst_sel:DWORD dst_unused:UNUSED_PAD src0_sel:DWORD src1_sel:WORD_1
	v_mul_f16_sdwa v63, v33, v19 dst_sel:DWORD dst_unused:UNUSED_PAD src0_sel:DWORD src1_sel:WORD_1
	v_mul_f16_sdwa v64, v25, v19 dst_sel:DWORD dst_unused:UNUSED_PAD src0_sel:DWORD src1_sel:WORD_1
	v_mul_f16_sdwa v65, v34, v20 dst_sel:DWORD dst_unused:UNUSED_PAD src0_sel:DWORD src1_sel:WORD_1
	v_fma_f16 v12, v12, v21, -v59
	v_fma_f16 v13, v13, v22, -v61
	v_mul_f16_sdwa v68, v14, v20 dst_sel:DWORD dst_unused:UNUSED_PAD src0_sel:DWORD src1_sel:WORD_1
	v_fma_f16 v31, v31, v21, v60
	v_fma_f16 v32, v32, v22, v62
	v_mul_f16_sdwa v70, v36, v23 dst_sel:DWORD dst_unused:UNUSED_PAD src0_sel:DWORD src1_sel:WORD_1
	v_mul_f16_sdwa v71, v26, v23 dst_sel:DWORD dst_unused:UNUSED_PAD src0_sel:DWORD src1_sel:WORD_1
	v_mul_f16_sdwa v72, v29, v24 dst_sel:DWORD dst_unused:UNUSED_PAD src0_sel:DWORD src1_sel:WORD_1
	v_fma_f16 v25, v25, v19, -v63
	v_fma_f16 v63, v33, v19, v64
	v_fma_f16 v14, v14, v20, -v65
	v_add_f16_e32 v33, v12, v13
	v_mul_f16_sdwa v73, v27, v24 dst_sel:DWORD dst_unused:UNUSED_PAD src0_sel:DWORD src1_sel:WORD_1
	v_fma_f16 v64, v34, v20, v68
	v_fma_f16 v26, v26, v23, -v70
	v_fma_f16 v68, v36, v23, v71
	v_fma_f16 v70, v27, v24, -v72
	v_add_f16_e32 v27, v9, v12
	v_sub_f16_e32 v34, v31, v32
	v_add_f16_e32 v36, v30, v31
	v_add_f16_e32 v31, v31, v32
	;; [unrolled: 1-line block ×3, first 2 shown]
	v_fma_f16 v9, v33, -0.5, v9
	v_fma_f16 v71, v29, v24, v73
	v_sub_f16_e32 v12, v12, v13
	v_add_f16_e32 v60, v10, v25
	v_sub_f16_e32 v62, v63, v64
	v_add_f16_e32 v29, v27, v13
	v_fma_f16 v13, v31, -0.5, v30
	v_fma_f16 v10, v61, -0.5, v10
	v_fma_f16 v30, v34, s4, v9
	v_fma_f16 v31, v34, s5, v9
	v_add_f16_e32 v9, v35, v63
	v_fma_f16 v33, v62, s4, v10
	v_fma_f16 v34, v62, s5, v10
	v_add_f16_e32 v62, v9, v64
	v_add_f16_e32 v9, v63, v64
	v_fma_f16 v9, v9, -0.5, v35
	v_sub_f16_e32 v10, v25, v14
	v_fma_f16 v63, v10, s5, v9
	v_fma_f16 v64, v10, s4, v9
	v_add_f16_e32 v9, v11, v26
	v_add_f16_e32 v35, v9, v70
	;; [unrolled: 1-line block ×3, first 2 shown]
	v_fma_f16 v9, v9, -0.5, v11
	v_sub_f16_e32 v10, v68, v71
	v_add_f16_e32 v59, v36, v32
	v_fma_f16 v36, v10, s4, v9
	v_fma_f16 v27, v10, s5, v9
	v_add_f16_e32 v9, v66, v68
	v_add_f16_e32 v65, v9, v71
	;; [unrolled: 1-line block ×3, first 2 shown]
	v_fma_f16 v9, v9, -0.5, v66
	v_sub_f16_e32 v10, v26, v70
	v_add_f16_e32 v32, v60, v14
	v_fma_f16 v60, v12, s5, v13
	v_fma_f16 v66, v10, s5, v9
	v_fma_f16 v68, v10, s4, v9
	v_mul_u32_u24_e32 v9, 0x63, v15
	v_fma_f16 v61, v12, s4, v13
	v_add_lshl_u32 v53, v9, v53, 2
	v_pack_b32_f16 v9, v29, v59
	v_pack_b32_f16 v10, v30, v60
	ds_write2_b32 v53, v9, v10 offset1:33
	v_pack_b32_f16 v9, v31, v61
	ds_write_b32 v53, v9 offset:264
	v_mul_u32_u24_e32 v9, 0x63, v54
	v_add_lshl_u32 v54, v9, v55, 2
	v_pack_b32_f16 v9, v32, v62
	v_pack_b32_f16 v10, v33, v63
	s_movk_i32 s4, 0x63
	ds_write2_b32 v54, v9, v10 offset1:33
	v_pack_b32_f16 v9, v34, v64
	ds_write_b32 v54, v9 offset:264
	v_mad_legacy_u16 v9, v67, s4, v69
	v_lshlrev_b32_e32 v55, 2, v9
	v_pack_b32_f16 v9, v35, v65
	v_pack_b32_f16 v10, v36, v66
	ds_write2_b32 v55, v9, v10 offset1:33
	v_pack_b32_f16 v9, v27, v68
	ds_write_b32 v55, v9 offset:264
	s_waitcnt lgkmcnt(0)
	s_barrier
	s_and_saveexec_b64 s[4:5], s[0:1]
	s_cbranch_execz .LBB0_7
; %bb.6:
	ds_read2_b32 v[29:30], v37 offset1:99
	ds_read2_b32 v[31:32], v8 offset0:70 offset1:169
	v_add_u32_e32 v8, 0x400, v37
	ds_read2_b32 v[33:34], v8 offset0:140 offset1:239
	v_add_u32_e32 v8, 0x800, v37
	;; [unrolled: 2-line block ×3, first 2 shown]
	ds_read2_b32 v[27:28], v8 offset0:24 offset1:123
	ds_read_b32 v56, v37 offset:3960
	s_waitcnt lgkmcnt(5)
	v_lshrrev_b32_e32 v59, 16, v29
	v_lshrrev_b32_e32 v60, 16, v30
	s_waitcnt lgkmcnt(4)
	v_lshrrev_b32_e32 v61, 16, v31
	v_lshrrev_b32_e32 v62, 16, v32
	;; [unrolled: 3-line block ×5, first 2 shown]
	s_waitcnt lgkmcnt(0)
	v_lshrrev_b32_e32 v57, 16, v56
.LBB0_7:
	s_or_b64 exec, exec, s[4:5]
	v_add_u32_e32 v8, 0xffffff9d, v46
	v_cndmask_b32_e64 v8, v8, v46, s[0:1]
	v_mul_hi_i32_i24_e32 v9, 40, v8
	v_mul_i32_i24_e32 v8, 40, v8
	v_mov_b32_e32 v10, s15
	v_add_co_u32_e32 v69, vcc, s14, v8
	v_addc_co_u32_e32 v70, vcc, v10, v9, vcc
	global_load_dwordx4 v[8:11], v[69:70], off offset:384
	global_load_dwordx4 v[12:15], v[69:70], off offset:400
	global_load_dwordx2 v[25:26], v[69:70], off offset:416
	s_movk_i32 s6, 0x3abb
	s_mov_b32 s15, 0xb08e
	s_mov_b32 s14, 0xb93d
	;; [unrolled: 1-line block ×3, first 2 shown]
	s_waitcnt vmcnt(2)
	v_mul_f16_sdwa v69, v30, v8 dst_sel:DWORD dst_unused:UNUSED_PAD src0_sel:DWORD src1_sel:WORD_1
	v_mul_f16_sdwa v71, v31, v9 dst_sel:DWORD dst_unused:UNUSED_PAD src0_sel:DWORD src1_sel:WORD_1
	;; [unrolled: 1-line block ×4, first 2 shown]
	s_waitcnt vmcnt(1)
	v_mul_f16_sdwa v78, v65, v13 dst_sel:DWORD dst_unused:UNUSED_PAD src0_sel:DWORD src1_sel:WORD_1
	v_mul_f16_sdwa v79, v35, v13 dst_sel:DWORD dst_unused:UNUSED_PAD src0_sel:DWORD src1_sel:WORD_1
	;; [unrolled: 1-line block ×3, first 2 shown]
	s_waitcnt vmcnt(0)
	v_mul_f16_sdwa v87, v56, v26 dst_sel:DWORD dst_unused:UNUSED_PAD src0_sel:DWORD src1_sel:WORD_1
	v_mul_f16_sdwa v67, v60, v8 dst_sel:DWORD dst_unused:UNUSED_PAD src0_sel:DWORD src1_sel:WORD_1
	;; [unrolled: 1-line block ×9, first 2 shown]
	v_fma_f16 v60, v60, v8, v69
	v_fma_f16 v61, v61, v9, v71
	v_fma_f16 v71, v32, v10, -v72
	v_fma_f16 v72, v33, v11, -v74
	;; [unrolled: 1-line block ×3, first 2 shown]
	v_fma_f16 v35, v65, v13, v79
	v_fma_f16 v65, v68, v15, v83
	;; [unrolled: 1-line block ×3, first 2 shown]
	v_mul_f16_sdwa v73, v32, v10 dst_sel:DWORD dst_unused:UNUSED_PAD src0_sel:DWORD src1_sel:WORD_1
	v_mul_f16_sdwa v76, v64, v12 dst_sel:DWORD dst_unused:UNUSED_PAD src0_sel:DWORD src1_sel:WORD_1
	;; [unrolled: 1-line block ×4, first 2 shown]
	v_fma_f16 v67, v30, v8, -v67
	v_fma_f16 v63, v63, v11, v75
	v_fma_f16 v75, v36, v14, -v80
	v_fma_f16 v36, v66, v14, v81
	v_fma_f16 v66, v58, v25, v85
	v_fma_f16 v78, v56, v26, -v86
	v_sub_f16_e32 v89, v60, v68
	v_fma_f16 v70, v31, v9, -v70
	v_fma_f16 v62, v62, v10, v73
	v_fma_f16 v73, v34, v12, -v76
	v_fma_f16 v64, v64, v12, v77
	v_fma_f16 v76, v27, v15, -v82
	v_fma_f16 v77, v28, v25, -v84
	v_add_f16_e32 v27, v67, v78
	v_sub_f16_e32 v96, v67, v78
	v_sub_f16_e32 v90, v61, v66
	v_mul_f16_e32 v82, 0xb853, v89
	v_add_f16_e32 v32, v60, v68
	v_add_f16_e32 v30, v70, v77
	v_sub_f16_e32 v97, v70, v77
	v_sub_f16_e32 v95, v62, v65
	v_mul_f16_e32 v84, 0xb853, v96
	v_mul_f16_e32 v83, 0xbb47, v90
	v_fma_f16 v28, v27, s6, v82
	v_add_f16_e32 v33, v61, v66
	v_add_f16_e32 v31, v71, v76
	v_sub_f16_e32 v101, v71, v76
	v_mul_f16_e32 v87, 0xbb47, v89
	v_mul_f16_e32 v85, 0xbb47, v97
	v_fma_f16 v56, v32, s6, -v84
	v_fma_f16 v69, v30, s7, v83
	v_add_f16_e32 v28, v29, v28
	v_mul_f16_e32 v86, 0xbbeb, v95
	v_add_f16_e32 v34, v62, v65
	v_mul_f16_e32 v92, 0xbb47, v96
	v_mul_f16_e32 v88, 0xba0c, v90
	v_fma_f16 v57, v27, s7, v87
	v_fma_f16 v79, v33, s7, -v85
	v_add_f16_e32 v56, v59, v56
	v_add_f16_e32 v28, v69, v28
	v_mul_f16_e32 v91, 0xbbeb, v101
	v_fma_f16 v69, v31, s15, v86
	v_mul_f16_e32 v93, 0xba0c, v97
	v_fma_f16 v58, v32, s7, -v92
	v_fma_f16 v80, v30, s14, v88
	v_add_f16_e32 v57, v29, v57
	v_add_f16_e32 v56, v79, v56
	;; [unrolled: 1-line block ×3, first 2 shown]
	v_fma_f16 v69, v34, s15, -v91
	v_mul_f16_e32 v99, 0x3482, v95
	v_fma_f16 v81, v33, s14, -v93
	v_add_f16_e32 v58, v59, v58
	v_add_f16_e32 v57, v80, v57
	;; [unrolled: 1-line block ×3, first 2 shown]
	v_mul_f16_e32 v102, 0x3482, v101
	v_fma_f16 v69, v31, s16, v99
	v_add_f16_e32 v58, v81, v58
	v_add_f16_e32 v57, v69, v57
	v_fma_f16 v69, v34, s16, -v102
	v_sub_f16_e32 v107, v63, v36
	v_add_f16_e32 v58, v69, v58
	v_add_f16_e32 v69, v72, v75
	v_sub_f16_e32 v110, v72, v75
	v_mul_f16_e32 v94, 0xba0c, v107
	v_add_f16_e32 v79, v63, v36
	v_mul_f16_e32 v98, 0xba0c, v110
	v_fma_f16 v80, v69, s14, v94
	v_add_f16_e32 v28, v80, v28
	v_fma_f16 v80, v79, s14, -v98
	v_mul_f16_e32 v104, 0x3beb, v107
	v_add_f16_e32 v106, v80, v56
	v_mul_f16_e32 v105, 0x3beb, v110
	v_fma_f16 v56, v69, s15, v104
	v_sub_f16_e32 v109, v64, v35
	v_add_f16_e32 v112, v56, v57
	v_fma_f16 v56, v79, s15, -v105
	v_add_f16_e32 v80, v73, v74
	v_sub_f16_e32 v111, v73, v74
	v_mul_f16_e32 v100, 0xb482, v109
	v_add_f16_e32 v58, v56, v58
	v_add_f16_e32 v81, v64, v35
	v_mul_f16_e32 v103, 0xb482, v111
	v_fma_f16 v56, v80, s16, v100
	v_add_f16_e32 v56, v56, v28
	v_fma_f16 v28, v81, s16, -v103
	v_add_f16_e32 v57, v28, v106
	v_mul_f16_e32 v106, 0x3853, v109
	v_mul_f16_e32 v108, 0x3853, v111
	v_fma_f16 v28, v80, s6, v106
	v_add_f16_e32 v28, v28, v112
	v_fma_f16 v112, v81, s6, -v108
	v_add_f16_e32 v58, v112, v58
	s_and_saveexec_b64 s[4:5], s[0:1]
	s_cbranch_execz .LBB0_9
; %bb.8:
	v_mul_f16_e32 v132, 0xb482, v96
	v_fma_f16 v133, v32, s16, v132
	v_mul_f16_e32 v134, 0x3853, v97
	v_add_f16_e32 v133, v59, v133
	v_fma_f16 v135, v33, s6, v134
	v_add_f16_e32 v133, v135, v133
	v_mul_f16_e32 v135, 0xba0c, v101
	v_fma_f16 v136, v34, s14, v135
	v_add_f16_e32 v133, v136, v133
	v_mul_f16_e32 v136, 0x3b47, v110
	;; [unrolled: 3-line block ×4, first 2 shown]
	v_fma_f16 v139, v27, s16, -v138
	v_mul_f16_e32 v140, 0x3853, v90
	v_add_f16_e32 v139, v29, v139
	v_fma_f16 v141, v30, s6, -v140
	v_add_f16_e32 v139, v141, v139
	v_mul_f16_e32 v141, 0xba0c, v95
	v_fma_f16 v142, v31, s14, -v141
	v_add_f16_e32 v139, v142, v139
	v_mul_f16_e32 v142, 0x3b47, v107
	v_fma_f16 v143, v69, s7, -v142
	v_add_f16_e32 v139, v143, v139
	v_mul_f16_e32 v143, 0xbbeb, v109
	v_fma_f16 v144, v80, s15, -v143
	v_add_f16_e32 v139, v144, v139
	v_mul_f16_e32 v144, 0xba0c, v96
	v_fma_f16 v145, v32, s14, v144
	v_mul_f16_e32 v146, 0x3beb, v97
	v_add_f16_e32 v145, v59, v145
	v_fma_f16 v147, v33, s15, v146
	v_add_f16_e32 v60, v59, v60
	v_add_f16_e32 v145, v147, v145
	v_mul_f16_e32 v147, 0xb853, v101
	v_add_f16_e32 v60, v60, v61
	v_fma_f16 v148, v34, s6, v147
	v_add_f16_e32 v60, v60, v62
	v_add_f16_e32 v145, v148, v145
	;; [unrolled: 5-line block ×3, first 2 shown]
	v_mul_f16_e32 v149, 0x3b47, v111
	v_add_f16_e32 v35, v60, v35
	v_fma_f16 v150, v81, s7, v149
	v_add_f16_e32 v35, v35, v36
	v_fma_f16 v36, v32, s16, -v132
	v_add_f16_e32 v145, v150, v145
	v_mul_f16_e32 v150, 0xba0c, v89
	v_add_f16_e32 v36, v59, v36
	v_fma_f16 v60, v33, s6, -v134
	v_fma_f16 v151, v27, s14, -v150
	v_mul_f16_e32 v152, 0x3beb, v90
	v_add_f16_e32 v36, v60, v36
	v_fma_f16 v60, v34, s14, -v135
	v_add_f16_e32 v151, v29, v151
	v_fma_f16 v153, v30, s15, -v152
	v_add_f16_e32 v36, v60, v36
	v_fma_f16 v60, v79, s7, -v136
	v_add_f16_e32 v151, v153, v151
	v_mul_f16_e32 v153, 0xb853, v95
	v_add_f16_e32 v36, v60, v36
	v_fma_f16 v60, v81, s15, -v137
	v_fma_f16 v154, v31, s6, -v153
	v_add_f16_e32 v36, v60, v36
	v_fma_f16 v60, v27, s16, v138
	v_add_f16_e32 v151, v154, v151
	v_mul_f16_e32 v154, 0xb482, v107
	v_add_f16_e32 v60, v29, v60
	v_fma_f16 v61, v30, s6, v140
	v_fma_f16 v155, v69, s16, -v154
	v_add_f16_e32 v60, v61, v60
	v_fma_f16 v61, v31, s14, v141
	v_add_f16_e32 v151, v155, v151
	v_mul_f16_e32 v155, 0x3b47, v109
	v_add_f16_e32 v60, v61, v60
	v_fma_f16 v61, v69, s7, v142
	v_fma_f16 v156, v80, s7, -v155
	v_mul_f16_e32 v96, 0xbbeb, v96
	v_add_f16_e32 v60, v61, v60
	v_fma_f16 v61, v80, s15, v143
	v_add_f16_e32 v151, v156, v151
	v_fma_f16 v156, v32, s15, v96
	v_mul_f16_e32 v97, 0x3482, v97
	v_add_f16_e32 v67, v29, v67
	v_add_f16_e32 v60, v61, v60
	v_fma_f16 v61, v32, s14, -v144
	v_add_f16_e32 v156, v59, v156
	v_fma_f16 v157, v33, s16, v97
	v_mul_f16_e32 v101, 0x3b47, v101
	v_add_f16_e32 v67, v67, v70
	v_add_f16_e32 v61, v59, v61
	v_fma_f16 v62, v33, s15, -v146
	;; [unrolled: 6-line block ×3, first 2 shown]
	v_mul_f16_e32 v112, 0x3abb, v27
	v_mul_f16_e32 v113, 0x3abb, v32
	v_add_f16_e32 v156, v157, v156
	v_fma_f16 v157, v79, s6, v110
	v_mul_f16_e32 v111, 0xba0c, v111
	v_add_f16_e32 v67, v67, v72
	v_add_f16_e32 v61, v62, v61
	v_fma_f16 v62, v79, s16, -v148
	v_mul_f16_e32 v114, 0x36a6, v27
	v_mul_f16_e32 v115, 0x36a6, v32
	;; [unrolled: 1-line block ×4, first 2 shown]
	v_add_f16_e32 v156, v157, v156
	v_fma_f16 v157, v81, s14, v111
	v_mul_f16_e32 v89, 0xbbeb, v89
	v_add_f16_e32 v84, v84, v113
	v_sub_f16_e32 v82, v112, v82
	v_add_f16_e32 v67, v67, v73
	v_add_f16_e32 v61, v62, v61
	v_fma_f16 v62, v81, s7, -v149
	v_mul_f16_e32 v118, 0xb93d, v30
	v_mul_f16_e32 v119, 0xb93d, v33
	;; [unrolled: 1-line block ×4, first 2 shown]
	v_add_f16_e32 v156, v157, v156
	v_fma_f16 v157, v27, s15, -v89
	v_mul_f16_e32 v90, 0x3482, v90
	v_add_f16_e32 v92, v92, v115
	v_sub_f16_e32 v87, v114, v87
	v_add_f16_e32 v84, v59, v84
	v_add_f16_e32 v85, v85, v117
	;; [unrolled: 1-line block ×3, first 2 shown]
	v_sub_f16_e32 v83, v116, v83
	v_add_f16_e32 v67, v67, v74
	v_add_f16_e32 v61, v62, v61
	v_fma_f16 v62, v27, s14, v150
	v_fma_f16 v27, v27, s15, v89
	v_mul_f16_e32 v122, 0xbbad, v31
	v_mul_f16_e32 v123, 0xbbad, v34
	;; [unrolled: 1-line block ×4, first 2 shown]
	v_add_f16_e32 v157, v29, v157
	v_fma_f16 v158, v30, s16, -v90
	v_mul_f16_e32 v95, 0x3b47, v95
	v_add_f16_e32 v92, v59, v92
	v_add_f16_e32 v93, v93, v119
	v_add_f16_e32 v87, v29, v87
	v_sub_f16_e32 v88, v118, v88
	v_add_f16_e32 v84, v85, v84
	v_add_f16_e32 v85, v91, v121
	v_add_f16_e32 v82, v83, v82
	v_sub_f16_e32 v83, v120, v86
	v_add_f16_e32 v67, v67, v75
	v_add_f16_e32 v62, v29, v62
	;; [unrolled: 1-line block ×3, first 2 shown]
	v_fma_f16 v29, v30, s16, v90
	v_mul_f16_e32 v126, 0xb08e, v69
	v_mul_f16_e32 v127, 0xb08e, v79
	;; [unrolled: 1-line block ×4, first 2 shown]
	v_add_f16_e32 v157, v158, v157
	v_fma_f16 v158, v31, s7, -v95
	v_mul_f16_e32 v107, 0xb853, v107
	v_add_f16_e32 v92, v93, v92
	v_add_f16_e32 v93, v102, v123
	v_add_f16_e32 v87, v88, v87
	v_sub_f16_e32 v88, v122, v99
	v_add_f16_e32 v84, v85, v84
	v_add_f16_e32 v85, v98, v125
	;; [unrolled: 1-line block ×3, first 2 shown]
	v_sub_f16_e32 v83, v124, v94
	v_add_f16_e32 v67, v67, v76
	v_add_f16_e32 v35, v35, v65
	;; [unrolled: 1-line block ×3, first 2 shown]
	v_fma_f16 v29, v31, s7, v95
	v_mul_f16_e32 v130, 0x3abb, v80
	v_mul_f16_e32 v131, 0x3abb, v81
	v_add_f16_e32 v157, v158, v157
	v_fma_f16 v158, v69, s6, -v107
	v_mul_f16_e32 v109, 0xba0c, v109
	v_add_f16_e32 v92, v93, v92
	v_add_f16_e32 v93, v105, v127
	;; [unrolled: 1-line block ×3, first 2 shown]
	v_sub_f16_e32 v88, v126, v104
	v_add_f16_e32 v84, v85, v84
	v_add_f16_e32 v85, v103, v129
	;; [unrolled: 1-line block ×3, first 2 shown]
	v_sub_f16_e32 v83, v128, v100
	v_add_f16_e32 v67, v67, v77
	v_add_f16_e32 v35, v35, v66
	v_fma_f16 v63, v30, s15, v152
	v_fma_f16 v32, v32, s15, -v96
	v_add_f16_e32 v27, v29, v27
	v_fma_f16 v29, v69, s6, v107
	v_add_f16_e32 v157, v158, v157
	v_fma_f16 v158, v80, s14, -v109
	v_add_f16_e32 v92, v93, v92
	v_add_f16_e32 v93, v108, v131
	;; [unrolled: 1-line block ×3, first 2 shown]
	v_sub_f16_e32 v88, v130, v106
	v_add_f16_e32 v84, v85, v84
	v_add_f16_e32 v82, v83, v82
	;; [unrolled: 1-line block ×5, first 2 shown]
	v_fma_f16 v63, v31, s6, v153
	v_add_f16_e32 v32, v59, v32
	v_fma_f16 v33, v33, s16, -v97
	v_add_f16_e32 v27, v29, v27
	v_fma_f16 v29, v80, s14, v109
	v_add_f16_e32 v157, v158, v157
	v_add_f16_e32 v92, v93, v92
	;; [unrolled: 1-line block ×4, first 2 shown]
	v_fma_f16 v63, v69, s16, v154
	v_add_f16_e32 v32, v33, v32
	v_fma_f16 v33, v34, s7, -v101
	v_add_f16_e32 v27, v29, v27
	v_pack_b32_f16 v29, v67, v35
	v_pack_b32_f16 v30, v82, v84
	v_add_f16_e32 v62, v63, v62
	v_fma_f16 v63, v80, s7, v155
	v_add_f16_e32 v32, v33, v32
	v_fma_f16 v33, v79, s6, -v110
	ds_write2_b32 v37, v29, v30 offset1:99
	v_pack_b32_f16 v29, v87, v92
	v_pack_b32_f16 v30, v157, v156
	v_add_u32_e32 v31, 0x200, v37
	v_add_f16_e32 v62, v63, v62
	v_add_f16_e32 v32, v33, v32
	v_fma_f16 v33, v81, s14, -v111
	ds_write2_b32 v31, v29, v30 offset0:70 offset1:169
	v_pack_b32_f16 v29, v151, v145
	v_pack_b32_f16 v30, v139, v133
	v_add_u32_e32 v31, 0x400, v37
	v_add_f16_e32 v32, v33, v32
	ds_write2_b32 v31, v29, v30 offset0:140 offset1:239
	v_pack_b32_f16 v29, v60, v36
	v_pack_b32_f16 v30, v62, v61
	v_add_u32_e32 v31, 0x800, v37
	s_mov_b32 s6, 0x5040100
	ds_write2_b32 v31, v29, v30 offset0:82 offset1:181
	v_pack_b32_f16 v27, v27, v32
	v_perm_b32 v29, v58, v28, s6
	v_add_u32_e32 v30, 0xc00, v37
	ds_write2_b32 v30, v27, v29 offset0:24 offset1:123
	v_perm_b32 v27, v57, v56, s6
	ds_write_b32 v37, v27 offset:3960
.LBB0_9:
	s_or_b64 exec, exec, s[4:5]
	v_lshlrev_b32_e32 v27, 2, v46
	v_mov_b32_e32 v29, s13
	v_add_co_u32_e32 v27, vcc, s12, v27
	v_addc_co_u32_e32 v32, vcc, 0, v29, vcc
	v_add_co_u32_e32 v29, vcc, 0x1104, v27
	v_addc_co_u32_e32 v30, vcc, 0, v32, vcc
	s_waitcnt lgkmcnt(0)
	s_barrier
	global_load_dword v33, v[29:30], off offset:484
	global_load_dword v34, v[29:30], off offset:3872
	v_add_co_u32_e32 v31, vcc, 0x1000, v27
	v_addc_co_u32_e32 v32, vcc, 0, v32, vcc
	global_load_dword v35, v[31:32], off offset:260
	global_load_dword v36, v[29:30], off offset:1452
	;; [unrolled: 1-line block ×7, first 2 shown]
	ds_read2_b32 v[29:30], v37 offset1:121
	ds_read_b32 v31, v37 offset:3872
	v_add_u32_e32 v61, 0x200, v37
	v_add_u32_e32 v67, 0xa00, v37
	;; [unrolled: 1-line block ×3, first 2 shown]
	s_waitcnt lgkmcnt(1)
	v_lshrrev_b32_e32 v32, 16, v29
	v_lshrrev_b32_e32 v69, 16, v30
	s_waitcnt lgkmcnt(0)
	v_lshrrev_b32_e32 v70, 16, v31
	v_add_u32_e32 v60, 0x400, v37
	v_add_u32_e32 v59, 0x800, v37
	;; [unrolled: 1-line block ×3, first 2 shown]
	s_movk_i32 s4, 0x3aee
	s_waitcnt vmcnt(6)
	v_mul_f16_sdwa v75, v32, v35 dst_sel:DWORD dst_unused:UNUSED_PAD src0_sel:DWORD src1_sel:WORD_1
	v_mul_f16_sdwa v71, v69, v33 dst_sel:DWORD dst_unused:UNUSED_PAD src0_sel:DWORD src1_sel:WORD_1
	;; [unrolled: 1-line block ×4, first 2 shown]
	v_fma_f16 v71, v30, v33, -v71
	v_fma_f16 v29, v29, v35, -v75
	v_fma_f16 v30, v32, v35, v76
	v_mul_f16_sdwa v73, v70, v34 dst_sel:DWORD dst_unused:UNUSED_PAD src0_sel:DWORD src1_sel:WORD_1
	v_mul_f16_sdwa v74, v31, v34 dst_sel:DWORD dst_unused:UNUSED_PAD src0_sel:DWORD src1_sel:WORD_1
	v_pack_b32_f16 v29, v29, v30
	v_fma_f16 v33, v69, v33, v72
	v_fma_f16 v69, v31, v34, -v73
	v_fma_f16 v34, v70, v34, v74
	ds_write_b32 v37, v29
	ds_read2_b32 v[29:30], v61 offset0:114 offset1:235
	v_pack_b32_f16 v35, v71, v33
	ds_read2_b32 v[31:32], v67 offset0:86 offset1:207
	v_pack_b32_f16 v69, v69, v34
	ds_read2_b32 v[33:34], v68 offset0:100 offset1:221
	s_waitcnt lgkmcnt(2)
	v_lshrrev_b32_e32 v70, 16, v30
	s_waitcnt vmcnt(5)
	v_mul_f16_sdwa v71, v30, v36 dst_sel:DWORD dst_unused:UNUSED_PAD src0_sel:DWORD src1_sel:WORD_1
	s_waitcnt lgkmcnt(1)
	v_lshrrev_b32_e32 v72, 16, v31
	s_waitcnt vmcnt(4)
	v_mul_f16_sdwa v73, v31, v62 dst_sel:DWORD dst_unused:UNUSED_PAD src0_sel:DWORD src1_sel:WORD_1
	;; [unrolled: 4-line block ×3, first 2 shown]
	v_lshrrev_b32_e32 v76, 16, v32
	s_waitcnt vmcnt(2)
	v_mul_f16_sdwa v77, v32, v64 dst_sel:DWORD dst_unused:UNUSED_PAD src0_sel:DWORD src1_sel:WORD_1
	v_lshrrev_b32_e32 v78, 16, v29
	s_waitcnt vmcnt(0)
	v_mul_f16_sdwa v79, v29, v66 dst_sel:DWORD dst_unused:UNUSED_PAD src0_sel:DWORD src1_sel:WORD_1
	v_lshrrev_b32_e32 v80, 16, v34
	v_mul_f16_sdwa v81, v34, v65 dst_sel:DWORD dst_unused:UNUSED_PAD src0_sel:DWORD src1_sel:WORD_1
	v_mul_f16_sdwa v82, v70, v36 dst_sel:DWORD dst_unused:UNUSED_PAD src0_sel:DWORD src1_sel:WORD_1
	v_fma_f16 v70, v70, v36, v71
	v_mul_f16_sdwa v71, v72, v62 dst_sel:DWORD dst_unused:UNUSED_PAD src0_sel:DWORD src1_sel:WORD_1
	v_fma_f16 v72, v72, v62, v73
	;; [unrolled: 2-line block ×6, first 2 shown]
	v_fma_f16 v30, v30, v36, -v82
	v_fma_f16 v31, v31, v62, -v71
	v_fma_f16 v33, v33, v63, -v73
	v_fma_f16 v32, v32, v64, -v75
	v_fma_f16 v34, v34, v65, -v79
	v_fma_f16 v29, v29, v66, -v77
	v_pack_b32_f16 v30, v30, v70
	v_pack_b32_f16 v31, v31, v72
	;; [unrolled: 1-line block ×6, first 2 shown]
	ds_write2_b32 v60, v30, v33 offset0:107 offset1:228
	ds_write2_b32 v37, v35, v29 offset0:121 offset1:242
	;; [unrolled: 1-line block ×4, first 2 shown]
	s_waitcnt lgkmcnt(0)
	s_barrier
	ds_read2_b32 v[30:31], v37 offset1:121
	ds_read2_b32 v[34:35], v61 offset0:114 offset1:235
	ds_read2_b32 v[32:33], v67 offset0:86 offset1:207
	;; [unrolled: 1-line block ×3, first 2 shown]
	s_waitcnt lgkmcnt(2)
	v_pk_add_f16 v29, v30, v35
	s_waitcnt lgkmcnt(1)
	v_pk_add_f16 v36, v35, v32
	v_pk_fma_f16 v66, v36, 0.5, v30 op_sel_hi:[1,0,1] neg_lo:[1,0,0] neg_hi:[1,0,0]
	v_pk_add_f16 v30, v35, v32 neg_lo:[0,1] neg_hi:[0,1]
	s_waitcnt lgkmcnt(0)
	v_pk_add_f16 v35, v62, v33
	v_pk_add_f16 v29, v29, v32
	;; [unrolled: 1-line block ×3, first 2 shown]
	v_pk_fma_f16 v68, v35, 0.5, v31 op_sel_hi:[1,0,1] neg_lo:[1,0,0] neg_hi:[1,0,0]
	ds_read_b32 v31, v37 offset:3872
	v_pk_add_f16 v35, v34, v63
	v_pk_mul_f16 v67, v30, s4 op_sel_hi:[1,0]
	v_pk_add_f16 v32, v32, v33
	v_pk_add_f16 v33, v62, v33 neg_lo:[0,1] neg_hi:[0,1]
	s_waitcnt lgkmcnt(0)
	v_pk_add_f16 v36, v63, v31
	v_pk_add_f16 v35, v35, v31
	v_pk_fma_f16 v34, v36, 0.5, v34 op_sel_hi:[1,0,1] neg_lo:[1,0,0] neg_hi:[1,0,0]
	v_pk_add_f16 v31, v63, v31 neg_lo:[0,1] neg_hi:[0,1]
	v_pk_add_f16 v30, v66, v67 op_sel:[0,1] op_sel_hi:[1,0] neg_lo:[0,1] neg_hi:[0,1]
	v_pk_mul_f16 v69, v33, s4 op_sel_hi:[1,0]
	v_pk_fma_f16 v65, v31, s4, v34 op_sel:[0,0,1] op_sel_hi:[1,0,0] neg_lo:[1,0,0] neg_hi:[1,0,0]
	v_pk_fma_f16 v64, v31, s4, v34 op_sel:[0,0,1] op_sel_hi:[1,0,0]
	v_pk_add_f16 v31, v66, v67 op_sel:[0,1] op_sel_hi:[1,0]
	s_mov_b32 s4, 0xffff
	v_bfi_b32 v34, s4, v31, v30
	v_bfi_b32 v63, s4, v30, v31
	v_pk_add_f16 v33, v68, v69 op_sel:[0,1] op_sel_hi:[1,0] neg_lo:[0,1] neg_hi:[0,1]
	s_barrier
	ds_write_b32 v50, v29
	ds_write2_b32 v50, v63, v34 offset0:1 offset1:2
	ds_write_b32 v51, v32
	v_pk_add_f16 v34, v68, v69 op_sel:[0,1] op_sel_hi:[1,0]
	v_bfi_b32 v50, s4, v34, v33
	v_bfi_b32 v66, s4, v33, v34
	ds_write2_b32 v51, v66, v50 offset0:1 offset1:2
	ds_write_b32 v52, v35
	v_alignbit_b32 v50, v65, v64, 16
	v_alignbit_b32 v51, v64, v65, 16
	v_lshrrev_b32_e32 v36, 16, v65
	v_lshrrev_b32_e32 v62, 16, v30
	v_lshrrev_b32_e32 v63, 16, v33
	ds_write2_b32 v52, v51, v50 offset0:1 offset1:2
	v_lshrrev_b32_e32 v66, 16, v34
	v_lshrrev_b32_e32 v50, 16, v31
	s_waitcnt lgkmcnt(0)
	s_barrier
	s_and_saveexec_b64 s[4:5], s[0:1]
	s_cbranch_execz .LBB0_11
; %bb.10:
	ds_read2_b32 v[29:30], v37 offset1:99
	ds_read2_b32 v[31:32], v61 offset0:70 offset1:169
	ds_read2_b32 v[33:34], v60 offset0:140 offset1:239
	;; [unrolled: 1-line block ×3, first 2 shown]
	ds_read_b32 v56, v37 offset:3960
	ds_read2_b32 v[35:36], v59 offset0:82 offset1:181
	s_waitcnt lgkmcnt(5)
	v_lshrrev_b32_e32 v50, 16, v30
	s_waitcnt lgkmcnt(4)
	v_lshrrev_b32_e32 v62, 16, v31
	;; [unrolled: 2-line block ×3, first 2 shown]
	v_lshrrev_b32_e32 v63, 16, v34
	s_waitcnt lgkmcnt(2)
	v_lshrrev_b32_e32 v65, 16, v27
	v_lshrrev_b32_e32 v58, 16, v28
	s_waitcnt lgkmcnt(1)
	v_lshrrev_b32_e32 v57, 16, v56
	s_waitcnt lgkmcnt(0)
	v_alignbit_b32 v64, v27, v36, 16
.LBB0_11:
	s_or_b64 exec, exec, s[4:5]
	v_mul_f16_sdwa v27, v0, v50 dst_sel:DWORD dst_unused:UNUSED_PAD src0_sel:WORD_1 src1_sel:DWORD
	v_fma_f16 v51, v0, v30, v27
	v_mul_f16_sdwa v27, v0, v30 dst_sel:DWORD dst_unused:UNUSED_PAD src0_sel:WORD_1 src1_sel:DWORD
	v_fma_f16 v50, v0, v50, -v27
	v_mul_f16_sdwa v0, v1, v62 dst_sel:DWORD dst_unused:UNUSED_PAD src0_sel:WORD_1 src1_sel:DWORD
	v_fma_f16 v52, v1, v31, v0
	v_mul_f16_sdwa v0, v1, v31 dst_sel:DWORD dst_unused:UNUSED_PAD src0_sel:WORD_1 src1_sel:DWORD
	v_fma_f16 v31, v1, v62, -v0
	v_lshrrev_b32_e32 v0, 16, v32
	v_mul_f16_sdwa v1, v2, v0 dst_sel:DWORD dst_unused:UNUSED_PAD src0_sel:WORD_1 src1_sel:DWORD
	v_fma_f16 v59, v2, v32, v1
	v_mul_f16_sdwa v1, v2, v32 dst_sel:DWORD dst_unused:UNUSED_PAD src0_sel:WORD_1 src1_sel:DWORD
	v_fma_f16 v32, v2, v0, -v1
	v_mul_f16_sdwa v0, v3, v66 dst_sel:DWORD dst_unused:UNUSED_PAD src0_sel:WORD_1 src1_sel:DWORD
	v_fma_f16 v60, v3, v33, v0
	v_mul_f16_sdwa v0, v3, v33 dst_sel:DWORD dst_unused:UNUSED_PAD src0_sel:WORD_1 src1_sel:DWORD
	v_fma_f16 v33, v3, v66, -v0
	;; [unrolled: 4-line block ×3, first 2 shown]
	v_lshrrev_b32_e32 v0, 16, v35
	v_mul_f16_sdwa v1, v5, v0 dst_sel:DWORD dst_unused:UNUSED_PAD src0_sel:WORD_1 src1_sel:DWORD
	v_fma_f16 v62, v5, v35, v1
	v_mul_f16_sdwa v1, v5, v35 dst_sel:DWORD dst_unused:UNUSED_PAD src0_sel:WORD_1 src1_sel:DWORD
	v_fma_f16 v35, v5, v0, -v1
	v_mul_f16_sdwa v0, v6, v64 dst_sel:DWORD dst_unused:UNUSED_PAD src0_sel:WORD_1 src1_sel:DWORD
	v_fma_f16 v63, v6, v36, v0
	v_mul_f16_sdwa v0, v6, v36 dst_sel:DWORD dst_unused:UNUSED_PAD src0_sel:WORD_1 src1_sel:DWORD
	v_fma_f16 v6, v6, v64, -v0
	v_lshrrev_b32_e32 v0, 16, v64
	v_mul_f16_sdwa v1, v7, v65 dst_sel:DWORD dst_unused:UNUSED_PAD src0_sel:WORD_1 src1_sel:DWORD
	v_fma_f16 v64, v7, v0, v1
	v_mul_f16_sdwa v0, v7, v0 dst_sel:DWORD dst_unused:UNUSED_PAD src0_sel:WORD_1 src1_sel:DWORD
	v_fma_f16 v7, v7, v65, -v0
	v_mul_f16_sdwa v0, v17, v58 dst_sel:DWORD dst_unused:UNUSED_PAD src0_sel:WORD_1 src1_sel:DWORD
	v_fma_f16 v65, v17, v28, v0
	v_mul_f16_sdwa v0, v17, v28 dst_sel:DWORD dst_unused:UNUSED_PAD src0_sel:WORD_1 src1_sel:DWORD
	v_fma_f16 v36, v17, v58, -v0
	;; [unrolled: 4-line block ×3, first 2 shown]
	v_sub_f16_e32 v75, v50, v18
	v_add_f16_e32 v0, v58, v51
	v_add_f16_e32 v79, v18, v50
	s_movk_i32 s6, 0x3abb
	v_mul_f16_e32 v68, 0xb853, v75
	v_sub_f16_e32 v1, v51, v58
	s_mov_b32 s12, 0xb853
	v_mul_f16_e32 v69, 0x3abb, v79
	v_fma_f16 v2, v0, s6, -v68
	v_add_f16_e32 v3, v29, v2
	v_fma_f16 v2, v1, s12, v69
	v_mul_f16_e32 v72, 0xbb47, v75
	v_add_f16_sdwa v5, v29, v2 dst_sel:DWORD dst_unused:UNUSED_PAD src0_sel:WORD_1 src1_sel:DWORD
	s_mov_b32 s22, 0xbb47
	v_mul_f16_e32 v74, 0x36a6, v79
	v_fma_f16 v2, v0, s7, -v72
	v_add_f16_e32 v17, v29, v2
	v_fma_f16 v2, v1, s22, v74
	v_sub_f16_e32 v81, v31, v36
	v_add_f16_sdwa v27, v29, v2 dst_sel:DWORD dst_unused:UNUSED_PAD src0_sel:WORD_1 src1_sel:DWORD
	v_add_f16_e32 v2, v65, v52
	v_add_f16_e32 v85, v36, v31
	v_mul_f16_e32 v70, 0xbb47, v81
	v_sub_f16_e32 v4, v52, v65
	v_mul_f16_e32 v71, 0x36a6, v85
	v_fma_f16 v28, v2, s7, -v70
	v_add_f16_e32 v3, v28, v3
	v_fma_f16 v28, v4, s22, v71
	s_mov_b32 s13, 0xb93d
	v_mul_f16_e32 v76, 0xba0c, v81
	v_add_f16_e32 v28, v28, v5
	s_mov_b32 s14, 0xba0c
	v_mul_f16_e32 v80, 0xb93d, v85
	v_fma_f16 v5, v2, s13, -v76
	v_add_f16_e32 v30, v5, v17
	v_fma_f16 v5, v4, s14, v80
	v_sub_f16_e32 v87, v32, v7
	v_add_f16_e32 v27, v5, v27
	v_add_f16_e32 v5, v64, v59
	;; [unrolled: 1-line block ×3, first 2 shown]
	v_mul_f16_e32 v73, 0xbbeb, v87
	v_sub_f16_e32 v17, v59, v64
	s_mov_b32 s17, 0xbbeb
	v_mul_f16_e32 v77, 0xb08e, v90
	v_fma_f16 v56, v5, s15, -v73
	v_add_f16_e32 v3, v56, v3
	v_fma_f16 v56, v17, s17, v77
	v_mul_f16_e32 v83, 0x3482, v87
	v_add_f16_e32 v28, v56, v28
	s_movk_i32 s18, 0x3482
	v_mul_f16_e32 v86, 0xbbad, v90
	v_fma_f16 v56, v5, s16, -v83
	v_add_f16_e32 v30, v56, v30
	v_fma_f16 v56, v17, s18, v86
	v_sub_f16_e32 v92, v33, v6
	v_add_f16_e32 v27, v56, v27
	v_add_f16_e32 v56, v63, v60
	;; [unrolled: 1-line block ×3, first 2 shown]
	v_mul_f16_e32 v78, 0xba0c, v92
	v_sub_f16_e32 v57, v60, v63
	v_mul_f16_e32 v82, 0xb93d, v94
	v_fma_f16 v66, v56, s13, -v78
	v_add_f16_e32 v3, v66, v3
	v_fma_f16 v66, v57, s14, v82
	v_mul_f16_e32 v88, 0x3beb, v92
	v_add_f16_e32 v93, v66, v28
	s_movk_i32 s19, 0x3beb
	v_mul_f16_e32 v91, 0xb08e, v94
	v_fma_f16 v28, v56, s15, -v88
	v_sub_f16_e32 v96, v34, v35
	v_add_f16_e32 v98, v28, v30
	v_fma_f16 v28, v57, s19, v91
	v_add_f16_e32 v66, v62, v61
	v_add_f16_e32 v97, v35, v34
	v_mul_f16_e32 v84, 0xb482, v96
	v_add_f16_e32 v27, v28, v27
	v_sub_f16_e32 v67, v61, v62
	s_mov_b32 s20, 0xb482
	v_mul_f16_e32 v89, 0xbbad, v97
	v_fma_f16 v28, v66, s16, -v84
	v_add_f16_e32 v28, v28, v3
	v_fma_f16 v3, v67, s20, v89
	v_add_f16_e32 v30, v3, v93
	v_mul_f16_e32 v93, 0x3853, v96
	s_movk_i32 s21, 0x3853
	v_mul_f16_e32 v95, 0x3abb, v97
	v_fma_f16 v3, v66, s6, -v93
	v_add_f16_e32 v3, v3, v98
	v_fma_f16 v98, v67, s21, v95
	v_add_f16_e32 v27, v98, v27
	s_barrier
	s_and_saveexec_b64 s[4:5], s[0:1]
	s_cbranch_execz .LBB0_13
; %bb.12:
	v_mul_f16_e32 v118, 0xbbad, v79
	v_fma_f16 v119, v1, s18, v118
	v_mul_f16_e32 v120, 0x3abb, v85
	v_add_f16_sdwa v119, v29, v119 dst_sel:DWORD dst_unused:UNUSED_PAD src0_sel:WORD_1 src1_sel:DWORD
	v_fma_f16 v121, v4, s12, v120
	v_add_f16_e32 v119, v121, v119
	v_mul_f16_e32 v121, 0xb93d, v90
	s_movk_i32 s23, 0x3a0c
	v_fma_f16 v122, v17, s23, v121
	v_add_f16_e32 v119, v122, v119
	v_mul_f16_e32 v122, 0x36a6, v94
	v_fma_f16 v123, v57, s22, v122
	v_add_f16_e32 v119, v123, v119
	v_mul_f16_e32 v123, 0xb08e, v97
	;; [unrolled: 3-line block ×3, first 2 shown]
	v_fma_f16 v125, v0, s16, v124
	v_mul_f16_e32 v126, 0x3853, v81
	v_add_f16_e32 v125, v29, v125
	v_fma_f16 v127, v2, s6, v126
	v_add_f16_e32 v125, v127, v125
	v_mul_f16_e32 v127, 0xba0c, v87
	v_fma_f16 v128, v5, s13, v127
	v_add_f16_e32 v125, v128, v125
	v_mul_f16_e32 v128, 0x3b47, v92
	v_fma_f16 v129, v56, s7, v128
	v_add_f16_e32 v125, v129, v125
	v_mul_f16_e32 v129, 0xbbeb, v96
	v_fma_f16 v130, v66, s15, v129
	v_add_f16_e32 v125, v130, v125
	v_mul_f16_e32 v130, 0xb93d, v79
	v_add_f16_sdwa v50, v50, v29 dst_sel:DWORD dst_unused:UNUSED_PAD src0_sel:DWORD src1_sel:WORD_1
	v_fma_f16 v131, v1, s23, v130
	v_mul_f16_e32 v132, 0xb08e, v85
	v_add_f16_e32 v31, v31, v50
	v_add_f16_sdwa v131, v29, v131 dst_sel:DWORD dst_unused:UNUSED_PAD src0_sel:WORD_1 src1_sel:DWORD
	v_fma_f16 v133, v4, s17, v132
	v_add_f16_e32 v31, v32, v31
	v_add_f16_e32 v131, v133, v131
	v_mul_f16_e32 v133, 0x3abb, v90
	v_add_f16_e32 v31, v33, v31
	v_fma_f16 v134, v17, s21, v133
	v_add_f16_e32 v31, v34, v31
	v_add_f16_e32 v131, v134, v131
	v_mul_f16_e32 v134, 0xbbad, v94
	v_add_f16_e32 v31, v35, v31
	v_fma_f16 v135, v57, s18, v134
	v_add_f16_e32 v6, v6, v31
	v_add_f16_e32 v131, v135, v131
	v_mul_f16_e32 v135, 0x36a6, v97
	v_add_f16_e32 v6, v7, v6
	v_fma_f16 v136, v67, s22, v135
	v_add_f16_e32 v6, v36, v6
	v_fma_f16 v7, v1, s20, v118
	v_add_f16_e32 v131, v136, v131
	v_mul_f16_e32 v136, 0xba0c, v75
	v_add_f16_e32 v6, v18, v6
	v_add_f16_sdwa v7, v29, v7 dst_sel:DWORD dst_unused:UNUSED_PAD src0_sel:WORD_1 src1_sel:DWORD
	v_fma_f16 v18, v4, s21, v120
	s_movk_i32 s24, 0x3b47
	v_fma_f16 v137, v0, s13, v136
	v_mul_f16_e32 v138, 0x3beb, v81
	v_add_f16_e32 v7, v18, v7
	v_fma_f16 v18, v17, s14, v121
	v_add_f16_e32 v137, v29, v137
	v_fma_f16 v139, v2, s15, v138
	;; [unrolled: 2-line block ×3, first 2 shown]
	v_add_f16_e32 v137, v139, v137
	v_mul_f16_e32 v139, 0xb853, v87
	v_add_f16_e32 v7, v18, v7
	v_fma_f16 v18, v67, s17, v123
	v_fma_f16 v140, v5, s6, v139
	v_add_f16_e32 v7, v18, v7
	v_fma_f16 v18, v0, s16, -v124
	v_add_f16_e32 v137, v140, v137
	v_mul_f16_e32 v140, 0xb482, v92
	v_add_f16_e32 v18, v29, v18
	v_fma_f16 v31, v2, s6, -v126
	v_fma_f16 v141, v56, s16, v140
	v_add_f16_e32 v18, v31, v18
	v_fma_f16 v31, v5, s13, -v127
	v_add_f16_e32 v137, v141, v137
	v_mul_f16_e32 v141, 0x3b47, v96
	v_add_f16_e32 v18, v31, v18
	v_fma_f16 v31, v56, s7, -v128
	v_fma_f16 v142, v66, s7, v141
	v_mul_f16_e32 v79, 0xb08e, v79
	v_add_f16_e32 v18, v31, v18
	v_fma_f16 v31, v66, s15, -v129
	v_add_f16_e32 v137, v142, v137
	v_fma_f16 v142, v1, s19, v79
	v_mul_f16_e32 v85, 0xbbad, v85
	v_add_f16_e32 v51, v29, v51
	v_add_f16_e32 v18, v31, v18
	v_fma_f16 v31, v1, s14, v130
	v_add_f16_sdwa v142, v29, v142 dst_sel:DWORD dst_unused:UNUSED_PAD src0_sel:WORD_1 src1_sel:DWORD
	v_fma_f16 v143, v4, s20, v85
	v_mul_f16_e32 v90, 0x36a6, v90
	v_add_f16_e32 v51, v52, v51
	v_add_f16_sdwa v31, v29, v31 dst_sel:DWORD dst_unused:UNUSED_PAD src0_sel:WORD_1 src1_sel:DWORD
	v_fma_f16 v32, v4, s19, v132
	v_add_f16_e32 v142, v143, v142
	v_fma_f16 v143, v17, s22, v90
	v_mul_f16_e32 v94, 0x3abb, v94
	v_add_f16_e32 v51, v59, v51
	v_add_f16_e32 v31, v32, v31
	v_fma_f16 v32, v17, s12, v133
	v_mul_f16_e32 v98, 0x3abb, v0
	v_mul_f16_e32 v99, 0xb853, v1
	v_add_f16_e32 v142, v143, v142
	v_fma_f16 v143, v57, s21, v94
	v_mul_f16_e32 v97, 0xb93d, v97
	v_add_f16_e32 v51, v60, v51
	v_add_f16_e32 v31, v32, v31
	v_fma_f16 v32, v57, s20, v134
	v_mul_f16_e32 v100, 0x36a6, v0
	v_mul_f16_e32 v101, 0xbb47, v1
	;; [unrolled: 1-line block ×4, first 2 shown]
	v_add_f16_e32 v142, v143, v142
	v_fma_f16 v143, v67, s23, v97
	v_mul_f16_e32 v75, 0xbbeb, v75
	v_sub_f16_e32 v69, v69, v99
	v_add_f16_e32 v68, v98, v68
	v_add_f16_e32 v51, v61, v51
	;; [unrolled: 1-line block ×3, first 2 shown]
	v_fma_f16 v32, v67, s24, v135
	v_mul_f16_e32 v104, 0xb93d, v2
	v_mul_f16_e32 v105, 0xba0c, v4
	;; [unrolled: 1-line block ×4, first 2 shown]
	v_add_f16_e32 v142, v143, v142
	v_fma_f16 v143, v0, s15, v75
	v_mul_f16_e32 v81, 0x3482, v81
	v_sub_f16_e32 v74, v74, v101
	v_add_f16_e32 v72, v100, v72
	v_add_f16_sdwa v69, v29, v69 dst_sel:DWORD dst_unused:UNUSED_PAD src0_sel:WORD_1 src1_sel:DWORD
	v_sub_f16_e32 v71, v71, v103
	v_add_f16_e32 v68, v29, v68
	v_add_f16_e32 v70, v102, v70
	;; [unrolled: 1-line block ×4, first 2 shown]
	v_fma_f16 v32, v0, s13, -v136
	v_fma_f16 v1, v1, s17, v79
	v_fma_f16 v0, v0, s15, -v75
	v_mul_f16_e32 v108, 0xbbad, v5
	v_mul_f16_e32 v109, 0x3482, v17
	;; [unrolled: 1-line block ×4, first 2 shown]
	v_add_f16_e32 v143, v29, v143
	v_fma_f16 v144, v2, s16, v81
	v_mul_f16_e32 v87, 0x3b47, v87
	v_add_f16_sdwa v74, v29, v74 dst_sel:DWORD dst_unused:UNUSED_PAD src0_sel:WORD_1 src1_sel:DWORD
	v_sub_f16_e32 v80, v80, v105
	v_add_f16_e32 v72, v29, v72
	v_add_f16_e32 v76, v104, v76
	;; [unrolled: 1-line block ×3, first 2 shown]
	v_sub_f16_e32 v71, v77, v107
	v_add_f16_e32 v68, v70, v68
	v_add_f16_e32 v70, v106, v73
	;; [unrolled: 1-line block ×3, first 2 shown]
	v_fma_f16 v33, v2, s15, -v138
	v_add_f16_sdwa v1, v29, v1 dst_sel:DWORD dst_unused:UNUSED_PAD src0_sel:WORD_1 src1_sel:DWORD
	v_fma_f16 v4, v4, s18, v85
	v_add_f16_e32 v0, v29, v0
	v_fma_f16 v2, v2, s16, -v81
	v_mul_f16_e32 v112, 0xb08e, v56
	v_mul_f16_e32 v113, 0x3beb, v57
	;; [unrolled: 1-line block ×4, first 2 shown]
	v_add_f16_e32 v143, v144, v143
	v_fma_f16 v144, v5, s7, v87
	v_mul_f16_e32 v92, 0xb853, v92
	v_add_f16_e32 v74, v80, v74
	v_sub_f16_e32 v80, v86, v109
	v_add_f16_e32 v72, v76, v72
	v_add_f16_e32 v76, v108, v83
	;; [unrolled: 1-line block ×3, first 2 shown]
	v_sub_f16_e32 v71, v82, v111
	v_add_f16_e32 v68, v70, v68
	v_add_f16_e32 v70, v110, v78
	;; [unrolled: 1-line block ×4, first 2 shown]
	v_fma_f16 v4, v17, s24, v90
	v_add_f16_e32 v0, v2, v0
	v_fma_f16 v2, v5, s7, -v87
	v_mul_f16_e32 v116, 0x3abb, v66
	v_mul_f16_e32 v117, 0x3853, v67
	v_add_f16_e32 v143, v144, v143
	v_fma_f16 v144, v56, s6, v92
	v_mul_f16_e32 v96, 0xba0c, v96
	v_add_f16_e32 v74, v80, v74
	v_sub_f16_e32 v80, v91, v113
	v_add_f16_e32 v72, v76, v72
	v_add_f16_e32 v76, v112, v88
	;; [unrolled: 1-line block ×3, first 2 shown]
	v_sub_f16_e32 v71, v89, v115
	v_add_f16_e32 v68, v70, v68
	v_add_f16_e32 v70, v114, v84
	;; [unrolled: 1-line block ×5, first 2 shown]
	v_fma_f16 v4, v57, s12, v94
	v_add_f16_e32 v0, v2, v0
	v_fma_f16 v2, v56, s6, -v92
	v_add_f16_e32 v143, v144, v143
	v_fma_f16 v144, v66, s13, v96
	v_add_f16_e32 v74, v80, v74
	v_sub_f16_e32 v80, v95, v117
	v_add_f16_e32 v72, v76, v72
	v_add_f16_e32 v76, v116, v93
	;; [unrolled: 1-line block ×6, first 2 shown]
	v_fma_f16 v33, v5, s6, -v139
	v_add_f16_e32 v1, v4, v1
	v_fma_f16 v4, v67, s14, v97
	v_add_f16_e32 v0, v2, v0
	v_fma_f16 v2, v66, s13, -v96
	v_add_f16_e32 v143, v144, v143
	v_add_f16_e32 v74, v80, v74
	;; [unrolled: 1-line block ×4, first 2 shown]
	v_fma_f16 v33, v56, s16, -v140
	v_add_f16_e32 v1, v4, v1
	v_add_f16_e32 v0, v2, v0
	v_add_lshl_u32 v2, v49, v48, 2
	v_pack_b32_f16 v4, v51, v6
	v_pack_b32_f16 v5, v68, v69
	v_add_f16_e32 v32, v33, v32
	v_fma_f16 v33, v66, s7, -v141
	ds_write2_b32 v2, v4, v5 offset1:3
	v_pack_b32_f16 v4, v72, v74
	v_pack_b32_f16 v5, v143, v142
	s_mov_b32 s6, 0x5040100
	v_add_f16_e32 v32, v33, v32
	ds_write2_b32 v2, v4, v5 offset0:6 offset1:9
	v_pack_b32_f16 v4, v137, v131
	v_pack_b32_f16 v5, v125, v119
	;; [unrolled: 1-line block ×3, first 2 shown]
	v_perm_b32 v1, v27, v3, s6
	ds_write2_b32 v2, v4, v5 offset0:12 offset1:15
	v_pack_b32_f16 v4, v18, v7
	v_pack_b32_f16 v5, v32, v31
	ds_write2_b32 v2, v0, v1 offset0:24 offset1:27
	v_perm_b32 v0, v30, v28, s6
	ds_write2_b32 v2, v4, v5 offset0:18 offset1:21
	ds_write_b32 v2, v0 offset:120
.LBB0_13:
	s_or_b64 exec, exec, s[4:5]
	v_add_u32_e32 v32, 0x200, v37
	s_waitcnt lgkmcnt(0)
	s_barrier
	ds_read2_b32 v[33:34], v32 offset0:114 offset1:235
	v_add_u32_e32 v0, 0xa00, v37
	ds_read2_b32 v[4:5], v0 offset0:86 offset1:207
	v_add_u32_e32 v0, 0x600, v37
	ds_read2_b32 v[6:7], v0 offset0:100 offset1:221
	s_waitcnt lgkmcnt(2)
	v_lshrrev_b32_e32 v0, 16, v34
	v_mul_f16_sdwa v51, v21, v0 dst_sel:DWORD dst_unused:UNUSED_PAD src0_sel:WORD_1 src1_sel:DWORD
	s_waitcnt lgkmcnt(1)
	v_lshrrev_b32_e32 v18, 16, v4
	v_fma_f16 v51, v21, v34, v51
	v_mul_f16_sdwa v34, v21, v34 dst_sel:DWORD dst_unused:UNUSED_PAD src0_sel:WORD_1 src1_sel:DWORD
	v_fma_f16 v21, v21, v0, -v34
	v_mul_f16_sdwa v0, v22, v18 dst_sel:DWORD dst_unused:UNUSED_PAD src0_sel:WORD_1 src1_sel:DWORD
	s_waitcnt lgkmcnt(0)
	v_lshrrev_b32_e32 v35, 16, v6
	v_fma_f16 v34, v22, v4, v0
	v_mul_f16_sdwa v0, v22, v4 dst_sel:DWORD dst_unused:UNUSED_PAD src0_sel:WORD_1 src1_sel:DWORD
	ds_read_b32 v29, v37 offset:3872
	v_fma_f16 v4, v22, v18, -v0
	v_mul_f16_sdwa v0, v19, v35 dst_sel:DWORD dst_unused:UNUSED_PAD src0_sel:WORD_1 src1_sel:DWORD
	v_lshrrev_b32_e32 v36, 16, v5
	v_fma_f16 v18, v19, v6, v0
	v_mul_f16_sdwa v0, v19, v6 dst_sel:DWORD dst_unused:UNUSED_PAD src0_sel:WORD_1 src1_sel:DWORD
	ds_read2_b32 v[1:2], v37 offset1:121
	v_fma_f16 v35, v19, v35, -v0
	v_mul_f16_sdwa v0, v20, v36 dst_sel:DWORD dst_unused:UNUSED_PAD src0_sel:WORD_1 src1_sel:DWORD
	v_lshrrev_b32_e32 v49, 16, v7
	v_fma_f16 v52, v20, v5, v0
	v_mul_f16_sdwa v0, v20, v5 dst_sel:DWORD dst_unused:UNUSED_PAD src0_sel:WORD_1 src1_sel:DWORD
	v_fma_f16 v20, v20, v36, -v0
	v_mul_f16_sdwa v0, v23, v49 dst_sel:DWORD dst_unused:UNUSED_PAD src0_sel:WORD_1 src1_sel:DWORD
	s_waitcnt lgkmcnt(1)
	v_lshrrev_b32_e32 v50, 16, v29
	v_fma_f16 v36, v23, v7, v0
	v_mul_f16_sdwa v0, v23, v7 dst_sel:DWORD dst_unused:UNUSED_PAD src0_sel:WORD_1 src1_sel:DWORD
	v_fma_f16 v49, v23, v49, -v0
	v_mul_f16_sdwa v0, v24, v50 dst_sel:DWORD dst_unused:UNUSED_PAD src0_sel:WORD_1 src1_sel:DWORD
	v_add_f16_e32 v5, v51, v34
	s_waitcnt lgkmcnt(0)
	v_lshrrev_b32_e32 v17, 16, v1
	v_fma_f16 v56, v24, v29, v0
	v_mul_f16_sdwa v0, v24, v29 dst_sel:DWORD dst_unused:UNUSED_PAD src0_sel:WORD_1 src1_sel:DWORD
	v_fma_f16 v5, v5, -0.5, v1
	v_sub_f16_e32 v6, v21, v4
	s_mov_b32 s4, 0xbaee
	s_movk_i32 s5, 0x3aee
	v_fma_f16 v50, v24, v50, -v0
	v_add_f16_e32 v0, v1, v51
	v_fma_f16 v1, v6, s4, v5
	v_fma_f16 v6, v6, s5, v5
	v_add_f16_e32 v5, v17, v21
	v_add_f16_e32 v19, v5, v4
	;; [unrolled: 1-line block ×3, first 2 shown]
	v_fma_f16 v4, v4, -0.5, v17
	v_sub_f16_e32 v5, v51, v34
	v_fma_f16 v29, v5, s5, v4
	v_fma_f16 v23, v5, s4, v4
	v_add_f16_e32 v4, v2, v18
	v_add_f16_e32 v7, v4, v52
	;; [unrolled: 1-line block ×3, first 2 shown]
	v_lshrrev_b32_e32 v31, 16, v2
	v_fma_f16 v2, v4, -0.5, v2
	v_sub_f16_e32 v5, v35, v20
	v_fma_f16 v4, v5, s4, v2
	v_fma_f16 v5, v5, s5, v2
	v_add_f16_e32 v2, v31, v35
	v_add_f16_e32 v22, v2, v20
	;; [unrolled: 1-line block ×3, first 2 shown]
	v_fma_f16 v2, v2, -0.5, v31
	v_sub_f16_e32 v17, v18, v52
	v_fma_f16 v20, v17, s5, v2
	v_fma_f16 v21, v17, s4, v2
	v_add_f16_e32 v2, v33, v36
	v_lshrrev_b32_e32 v48, 16, v33
	v_add_f16_e32 v17, v2, v56
	v_add_f16_e32 v2, v36, v56
	;; [unrolled: 1-line block ×4, first 2 shown]
	v_fma_f16 v2, v2, -0.5, v33
	v_fma_f16 v33, v31, -0.5, v48
	v_sub_f16_e32 v34, v36, v56
	v_fma_f16 v31, v34, s5, v33
	v_fma_f16 v33, v34, s4, v33
	v_pack_b32_f16 v34, v0, v19
	v_pack_b32_f16 v35, v1, v29
	v_sub_f16_e32 v24, v49, v50
	s_barrier
	ds_write2_b32 v53, v34, v35 offset1:33
	v_pack_b32_f16 v34, v6, v23
	v_fma_f16 v18, v24, s4, v2
	v_fma_f16 v2, v24, s5, v2
	v_add_f16_e32 v24, v48, v49
	ds_write_b32 v53, v34 offset:264
	v_pack_b32_f16 v34, v7, v22
	v_pack_b32_f16 v35, v4, v20
	v_add_f16_e32 v24, v24, v50
	ds_write2_b32 v54, v34, v35 offset1:33
	v_pack_b32_f16 v34, v5, v21
	ds_write_b32 v54, v34 offset:264
	v_pack_b32_f16 v34, v17, v24
	v_pack_b32_f16 v35, v18, v31
	ds_write2_b32 v55, v34, v35 offset1:33
	v_pack_b32_f16 v34, v2, v33
	ds_write_b32 v55, v34 offset:264
	s_waitcnt lgkmcnt(0)
	s_barrier
	s_and_saveexec_b64 s[4:5], s[0:1]
	s_cbranch_execz .LBB0_15
; %bb.14:
	v_add_u32_e32 v2, 0x400, v37
	ds_read2_b32 v[0:1], v37 offset1:99
	ds_read2_b32 v[6:7], v32 offset0:70 offset1:169
	ds_read2_b32 v[4:5], v2 offset0:140 offset1:239
	v_add_u32_e32 v2, 0x800, v37
	ds_read2_b32 v[17:18], v2 offset0:82 offset1:181
	v_add_u32_e32 v2, 0xc00, v37
	ds_read2_b32 v[2:3], v2 offset0:24 offset1:123
	ds_read_b32 v28, v37 offset:3960
	s_waitcnt lgkmcnt(5)
	v_lshrrev_b32_e32 v19, 16, v0
	v_lshrrev_b32_e32 v29, 16, v1
	s_waitcnt lgkmcnt(4)
	v_lshrrev_b32_e32 v23, 16, v6
	v_lshrrev_b32_e32 v22, 16, v7
	;; [unrolled: 3-line block ×5, first 2 shown]
	s_waitcnt lgkmcnt(0)
	v_lshrrev_b32_e32 v30, 16, v28
.LBB0_15:
	s_or_b64 exec, exec, s[4:5]
	s_and_saveexec_b64 s[4:5], s[0:1]
	s_cbranch_execz .LBB0_17
; %bb.16:
	v_mul_f16_sdwa v34, v8, v1 dst_sel:DWORD dst_unused:UNUSED_PAD src0_sel:WORD_1 src1_sel:DWORD
	v_mul_f16_sdwa v32, v26, v28 dst_sel:DWORD dst_unused:UNUSED_PAD src0_sel:WORD_1 src1_sel:DWORD
	v_fma_f16 v34, v8, v29, -v34
	v_mul_f16_sdwa v29, v8, v29 dst_sel:DWORD dst_unused:UNUSED_PAD src0_sel:WORD_1 src1_sel:DWORD
	v_fma_f16 v32, v26, v30, -v32
	v_fma_f16 v1, v8, v1, v29
	v_mul_f16_sdwa v8, v26, v30 dst_sel:DWORD dst_unused:UNUSED_PAD src0_sel:WORD_1 src1_sel:DWORD
	v_mul_f16_sdwa v30, v9, v6 dst_sel:DWORD dst_unused:UNUSED_PAD src0_sel:WORD_1 src1_sel:DWORD
	;; [unrolled: 1-line block ×3, first 2 shown]
	v_fma_f16 v30, v9, v23, -v30
	v_mul_f16_sdwa v23, v9, v23 dst_sel:DWORD dst_unused:UNUSED_PAD src0_sel:WORD_1 src1_sel:DWORD
	v_add_f16_e32 v35, v32, v34
	v_fma_f16 v8, v26, v28, v8
	v_fma_f16 v29, v25, v27, -v29
	v_fma_f16 v6, v9, v6, v23
	v_mul_f16_sdwa v9, v25, v27 dst_sel:DWORD dst_unused:UNUSED_PAD src0_sel:WORD_1 src1_sel:DWORD
	v_mul_f16_e32 v36, 0xbbad, v35
	v_sub_f16_e32 v26, v1, v8
	s_movk_i32 s12, 0x3482
	v_add_f16_e32 v48, v29, v30
	v_fma_f16 v3, v25, v3, v9
	v_mul_f16_sdwa v27, v10, v7 dst_sel:DWORD dst_unused:UNUSED_PAD src0_sel:WORD_1 src1_sel:DWORD
	v_fma_f16 v28, v26, s12, v36
	v_mul_f16_e32 v49, 0x3abb, v48
	v_sub_f16_e32 v9, v6, v3
	s_mov_b32 s7, 0xb853
	v_mul_f16_sdwa v25, v15, v2 dst_sel:DWORD dst_unused:UNUSED_PAD src0_sel:WORD_1 src1_sel:DWORD
	v_fma_f16 v27, v10, v22, -v27
	v_mul_f16_sdwa v22, v10, v22 dst_sel:DWORD dst_unused:UNUSED_PAD src0_sel:WORD_1 src1_sel:DWORD
	v_add_f16_e32 v28, v19, v28
	v_fma_f16 v23, v9, s7, v49
	v_fma_f16 v25, v15, v33, -v25
	v_fma_f16 v7, v10, v7, v22
	v_mul_f16_sdwa v10, v15, v33 dst_sel:DWORD dst_unused:UNUSED_PAD src0_sel:WORD_1 src1_sel:DWORD
	v_add_f16_e32 v23, v23, v28
	v_add_f16_e32 v28, v25, v27
	v_fma_f16 v2, v15, v2, v10
	v_mul_f16_e32 v50, 0xb93d, v28
	v_sub_f16_e32 v10, v7, v2
	s_movk_i32 s21, 0x3a0c
	v_fma_f16 v15, v10, s21, v50
	v_add_f16_e32 v15, v15, v23
	v_mul_f16_sdwa v23, v11, v4 dst_sel:DWORD dst_unused:UNUSED_PAD src0_sel:WORD_1 src1_sel:DWORD
	v_mul_f16_sdwa v22, v14, v18 dst_sel:DWORD dst_unused:UNUSED_PAD src0_sel:WORD_1 src1_sel:DWORD
	v_fma_f16 v23, v11, v20, -v23
	v_mul_f16_sdwa v20, v11, v20 dst_sel:DWORD dst_unused:UNUSED_PAD src0_sel:WORD_1 src1_sel:DWORD
	v_fma_f16 v22, v14, v31, -v22
	v_fma_f16 v4, v11, v4, v20
	v_mul_f16_sdwa v11, v14, v31 dst_sel:DWORD dst_unused:UNUSED_PAD src0_sel:WORD_1 src1_sel:DWORD
	v_add_f16_e32 v33, v22, v23
	v_fma_f16 v11, v14, v18, v11
	v_mul_f16_e32 v51, 0x36a6, v33
	v_sub_f16_e32 v14, v4, v11
	s_mov_b32 s15, 0xbb47
	v_fma_f16 v18, v14, s15, v51
	v_mul_f16_sdwa v20, v12, v5 dst_sel:DWORD dst_unused:UNUSED_PAD src0_sel:WORD_1 src1_sel:DWORD
	v_add_f16_e32 v15, v18, v15
	v_mul_f16_sdwa v18, v13, v17 dst_sel:DWORD dst_unused:UNUSED_PAD src0_sel:WORD_1 src1_sel:DWORD
	v_fma_f16 v20, v12, v21, -v20
	v_mul_f16_sdwa v21, v12, v21 dst_sel:DWORD dst_unused:UNUSED_PAD src0_sel:WORD_1 src1_sel:DWORD
	v_fma_f16 v18, v13, v24, -v18
	v_fma_f16 v5, v12, v5, v21
	v_mul_f16_sdwa v12, v13, v24 dst_sel:DWORD dst_unused:UNUSED_PAD src0_sel:WORD_1 src1_sel:DWORD
	v_add_f16_e32 v31, v18, v20
	v_fma_f16 v12, v13, v17, v12
	v_mul_f16_e32 v52, 0xb08e, v31
	v_sub_f16_e32 v13, v5, v12
	s_movk_i32 s18, 0x3beb
	v_fma_f16 v17, v13, s18, v52
	v_sub_f16_e32 v21, v34, v32
	s_mov_b32 s0, 0xbbad
	v_add_f16_e32 v15, v17, v15
	v_add_f16_e32 v17, v8, v1
	v_mul_f16_e32 v24, 0xb482, v21
	v_sub_f16_e32 v55, v30, v29
	s_movk_i32 s1, 0x3abb
	v_fma_f16 v53, v17, s0, v24
	v_add_f16_e32 v54, v3, v6
	v_mul_f16_e32 v56, 0x3853, v55
	v_add_f16_e32 v53, v0, v53
	v_fma_f16 v57, v54, s1, v56
	v_sub_f16_e32 v58, v27, v25
	s_mov_b32 s6, 0xb93d
	v_add_f16_e32 v53, v57, v53
	v_add_f16_e32 v57, v2, v7
	v_mul_f16_e32 v59, 0xba0c, v58
	v_fma_f16 v60, v57, s6, v59
	v_sub_f16_e32 v61, v23, v22
	s_movk_i32 s13, 0x36a6
	v_add_f16_e32 v53, v60, v53
	v_add_f16_e32 v60, v11, v4
	v_mul_f16_e32 v62, 0x3b47, v61
	v_fma_f16 v63, v60, s13, v62
	v_sub_f16_e32 v64, v20, v18
	s_mov_b32 s14, 0xb08e
	v_add_f16_e32 v53, v63, v53
	v_add_f16_e32 v63, v12, v5
	v_mul_f16_e32 v65, 0xbbeb, v64
	v_fma_f16 v66, v63, s14, v65
	v_add_f16_e32 v53, v66, v53
	v_mul_f16_e32 v66, 0xb93d, v35
	s_mov_b32 s20, 0xbbeb
	v_fma_f16 v67, v26, s21, v66
	v_mul_f16_e32 v68, 0xb08e, v48
	v_add_f16_e32 v67, v19, v67
	v_fma_f16 v69, v9, s20, v68
	s_movk_i32 s19, 0x3853
	v_add_f16_e32 v67, v69, v67
	v_mul_f16_e32 v69, 0x3abb, v28
	v_fma_f16 v70, v10, s19, v69
	v_add_f16_e32 v67, v70, v67
	v_mul_f16_e32 v70, 0xbbad, v33
	v_fma_f16 v71, v14, s12, v70
	v_add_f16_e32 v67, v71, v67
	v_mul_f16_e32 v71, 0x36a6, v31
	v_fma_f16 v72, v13, s15, v71
	v_add_f16_e32 v1, v0, v1
	v_add_f16_e32 v67, v72, v67
	v_mul_f16_e32 v72, 0xba0c, v21
	v_add_f16_e32 v1, v6, v1
	v_fma_f16 v73, v17, s6, v72
	v_mul_f16_e32 v74, 0x3beb, v55
	v_add_f16_e32 v1, v7, v1
	v_add_f16_e32 v73, v0, v73
	v_fma_f16 v75, v54, s14, v74
	v_add_f16_e32 v1, v4, v1
	v_add_f16_e32 v73, v75, v73
	v_mul_f16_e32 v75, 0xb853, v58
	v_add_f16_e32 v1, v5, v1
	v_fma_f16 v76, v57, s1, v75
	v_add_f16_e32 v1, v12, v1
	v_add_f16_e32 v73, v76, v73
	v_mul_f16_e32 v76, 0xb482, v61
	v_add_f16_e32 v1, v11, v1
	s_mov_b32 s16, 0xb482
	v_fma_f16 v77, v60, s0, v76
	v_add_f16_e32 v1, v2, v1
	v_add_f16_e32 v73, v77, v73
	v_mul_f16_e32 v77, 0x3b47, v64
	v_add_f16_e32 v1, v3, v1
	v_fma_f16 v3, v26, s16, v36
	s_mov_b32 s17, 0xba0c
	v_fma_f16 v78, v63, s13, v77
	v_add_f16_e32 v3, v19, v3
	v_fma_f16 v4, v9, s19, v49
	s_movk_i32 s22, 0x3b47
	v_add_f16_e32 v73, v78, v73
	v_mul_f16_e32 v78, 0xb08e, v35
	v_add_f16_e32 v3, v4, v3
	v_fma_f16 v4, v10, s17, v50
	v_fma_f16 v79, v26, s18, v78
	v_mul_f16_e32 v80, 0xbbad, v48
	v_add_f16_e32 v3, v4, v3
	v_fma_f16 v4, v14, s22, v51
	v_add_f16_e32 v79, v19, v79
	v_fma_f16 v81, v9, s16, v80
	v_add_f16_e32 v3, v4, v3
	v_fma_f16 v4, v13, s20, v52
	v_add_f16_e32 v79, v81, v79
	v_mul_f16_e32 v81, 0x36a6, v28
	v_add_f16_e32 v3, v4, v3
	v_fma_f16 v4, v17, s0, -v24
	v_fma_f16 v82, v10, s15, v81
	v_add_f16_e32 v4, v0, v4
	v_fma_f16 v5, v54, s1, -v56
	v_add_f16_e32 v79, v82, v79
	v_mul_f16_e32 v82, 0x3abb, v33
	v_add_f16_e32 v4, v5, v4
	v_fma_f16 v5, v57, s6, -v59
	v_fma_f16 v83, v14, s19, v82
	v_add_f16_e32 v4, v5, v4
	v_fma_f16 v5, v60, s13, -v62
	v_add_f16_e32 v79, v83, v79
	v_mul_f16_e32 v83, 0xb93d, v31
	v_add_f16_e32 v4, v5, v4
	v_fma_f16 v5, v63, s14, -v65
	v_fma_f16 v84, v13, s21, v83
	v_add_f16_e32 v4, v5, v4
	v_fma_f16 v5, v26, s17, v66
	v_add_f16_e32 v79, v84, v79
	v_mul_f16_e32 v84, 0xbbeb, v21
	v_add_f16_e32 v5, v19, v5
	v_fma_f16 v6, v9, s18, v68
	v_fma_f16 v85, v17, s14, v84
	v_mul_f16_e32 v86, 0x3482, v55
	v_add_f16_e32 v5, v6, v5
	v_fma_f16 v6, v10, s7, v69
	v_add_f16_e32 v85, v0, v85
	v_fma_f16 v87, v54, s0, v86
	;; [unrolled: 2-line block ×3, first 2 shown]
	v_add_f16_e32 v85, v87, v85
	v_mul_f16_e32 v87, 0x3b47, v58
	v_add_f16_e32 v5, v6, v5
	v_fma_f16 v6, v13, s22, v71
	v_fma_f16 v88, v57, s13, v87
	v_add_f16_e32 v5, v6, v5
	v_fma_f16 v6, v17, s6, -v72
	v_add_f16_e32 v85, v88, v85
	v_mul_f16_e32 v88, 0xb853, v61
	v_add_f16_e32 v6, v0, v6
	v_fma_f16 v7, v54, s14, -v74
	v_fma_f16 v89, v60, s1, v88
	v_add_f16_e32 v6, v7, v6
	v_fma_f16 v7, v57, s1, -v75
	v_add_f16_e32 v85, v89, v85
	v_mul_f16_e32 v89, 0xba0c, v64
	v_add_f16_e32 v6, v7, v6
	v_fma_f16 v7, v60, s0, -v76
	v_fma_f16 v90, v63, s6, v89
	v_add_f16_e32 v6, v7, v6
	v_fma_f16 v7, v63, s13, -v77
	v_add_f16_e32 v85, v90, v85
	v_mul_f16_e32 v90, 0x36a6, v35
	v_add_f16_e32 v6, v7, v6
	v_fma_f16 v7, v26, s20, v78
	v_fma_f16 v91, v26, s22, v90
	v_mul_f16_e32 v92, 0xb93d, v48
	v_add_f16_e32 v1, v8, v1
	v_add_f16_e32 v7, v19, v7
	v_fma_f16 v8, v9, s12, v80
	v_add_f16_e32 v91, v19, v91
	v_fma_f16 v93, v9, s21, v92
	;; [unrolled: 2-line block ×3, first 2 shown]
	v_add_f16_e32 v91, v93, v91
	v_mul_f16_e32 v93, 0xbbad, v28
	v_add_f16_e32 v7, v8, v7
	v_fma_f16 v8, v14, s7, v82
	v_fma_f16 v94, v10, s16, v93
	v_add_f16_e32 v7, v8, v7
	v_fma_f16 v8, v13, s17, v83
	v_add_f16_e32 v91, v94, v91
	v_mul_f16_e32 v94, 0xb08e, v33
	v_add_f16_e32 v7, v8, v7
	v_fma_f16 v8, v17, s14, -v84
	v_fma_f16 v95, v14, s20, v94
	v_add_f16_e32 v8, v0, v8
	v_fma_f16 v11, v54, s0, -v86
	v_add_f16_e32 v91, v95, v91
	v_mul_f16_e32 v95, 0x3abb, v31
	v_add_f16_e32 v8, v11, v8
	v_fma_f16 v11, v57, s13, -v87
	v_fma_f16 v96, v13, s7, v95
	v_add_f16_e32 v8, v11, v8
	v_fma_f16 v11, v60, s1, -v88
	v_add_f16_e32 v91, v96, v91
	v_mul_f16_e32 v96, 0xbb47, v21
	v_add_f16_e32 v8, v11, v8
	v_fma_f16 v11, v63, s6, -v89
	v_fma_f16 v97, v17, s13, v96
	v_mul_f16_e32 v98, 0xba0c, v55
	v_add_f16_e32 v8, v11, v8
	v_fma_f16 v11, v26, s15, v90
	v_add_f16_e32 v97, v0, v97
	v_fma_f16 v99, v54, s6, v98
	v_add_f16_e32 v2, v34, v19
	v_add_f16_e32 v11, v19, v11
	v_fma_f16 v12, v9, s17, v92
	v_add_f16_e32 v97, v99, v97
	v_mul_f16_e32 v99, 0x3482, v58
	v_add_f16_e32 v2, v30, v2
	v_add_f16_e32 v11, v12, v11
	v_fma_f16 v12, v10, s12, v93
	v_fma_f16 v100, v57, s0, v99
	v_add_f16_e32 v2, v27, v2
	v_add_f16_e32 v11, v12, v11
	v_fma_f16 v12, v14, s18, v94
	v_add_f16_e32 v97, v100, v97
	v_mul_f16_e32 v100, 0x3beb, v61
	v_add_f16_e32 v2, v23, v2
	v_add_f16_e32 v11, v12, v11
	v_fma_f16 v12, v13, s19, v95
	v_fma_f16 v101, v60, s14, v100
	v_add_f16_e32 v2, v20, v2
	v_add_f16_e32 v11, v12, v11
	v_fma_f16 v12, v17, s13, -v96
	v_add_f16_e32 v97, v101, v97
	v_mul_f16_e32 v101, 0x3853, v64
	v_add_f16_e32 v2, v18, v2
	v_add_f16_e32 v12, v0, v12
	v_fma_f16 v18, v54, s6, -v98
	v_fma_f16 v102, v63, s1, v101
	v_mul_f16_e32 v35, 0x3abb, v35
	v_add_f16_e32 v12, v18, v12
	v_fma_f16 v18, v57, s0, -v99
	v_add_f16_e32 v97, v102, v97
	v_fma_f16 v102, v26, s19, v35
	v_mul_f16_e32 v48, 0x36a6, v48
	v_add_f16_e32 v12, v18, v12
	v_fma_f16 v18, v60, s14, -v100
	v_add_f16_e32 v102, v19, v102
	;; [unrolled: 5-line block ×3, first 2 shown]
	v_fma_f16 v103, v10, s18, v28
	v_mul_f16_e32 v33, 0xb93d, v33
	v_add_f16_e32 v12, v18, v12
	v_fma_f16 v18, v26, s7, v35
	v_add_f16_e32 v102, v103, v102
	v_fma_f16 v103, v14, s21, v33
	v_mul_f16_e32 v31, 0xbbad, v31
	v_add_f16_e32 v18, v19, v18
	v_fma_f16 v9, v9, s15, v48
	v_add_f16_e32 v102, v103, v102
	;; [unrolled: 5-line block ×5, first 2 shown]
	v_fma_f16 v104, v57, s14, v58
	v_mul_f16_e32 v61, 0xba0c, v61
	v_add_f16_e32 v2, v22, v2
	v_add_f16_e32 v9, v10, v9
	v_fma_f16 v10, v17, s1, -v21
	v_add_f16_e32 v103, v104, v103
	v_fma_f16 v104, v60, s6, v61
	v_mul_f16_e32 v64, 0xb482, v64
	v_add_f16_e32 v2, v25, v2
	v_add_f16_e32 v0, v0, v10
	v_fma_f16 v10, v54, s13, -v55
	v_add_f16_e32 v103, v104, v103
	v_fma_f16 v104, v63, s0, v64
	v_add_f16_e32 v2, v29, v2
	v_add_f16_e32 v0, v10, v0
	v_fma_f16 v10, v57, s14, -v58
	v_add_f16_e32 v103, v104, v103
	v_add_f16_e32 v2, v32, v2
	v_add_f16_e32 v0, v10, v0
	v_fma_f16 v10, v60, s6, -v61
	v_add_f16_e32 v0, v10, v0
	v_fma_f16 v10, v63, s0, -v64
	v_pack_b32_f16 v1, v1, v2
	v_pack_b32_f16 v2, v103, v102
	v_add_f16_e32 v0, v10, v0
	ds_write2_b32 v37, v1, v2 offset1:99
	v_pack_b32_f16 v1, v97, v91
	v_pack_b32_f16 v2, v85, v79
	v_add_u32_e32 v10, 0x200, v37
	ds_write2_b32 v10, v1, v2 offset0:70 offset1:169
	v_pack_b32_f16 v1, v73, v67
	v_pack_b32_f16 v2, v53, v15
	v_add_u32_e32 v10, 0x400, v37
	ds_write2_b32 v10, v1, v2 offset0:140 offset1:239
	v_pack_b32_f16 v1, v4, v3
	v_pack_b32_f16 v2, v6, v5
	v_add_u32_e32 v3, 0x800, v37
	ds_write2_b32 v3, v1, v2 offset0:82 offset1:181
	v_pack_b32_f16 v1, v8, v7
	v_pack_b32_f16 v2, v12, v11
	v_add_u32_e32 v3, 0xc00, v37
	v_pack_b32_f16 v0, v0, v9
	ds_write2_b32 v3, v1, v2 offset0:24 offset1:123
	ds_write_b32 v37, v0 offset:3960
.LBB0_17:
	s_or_b64 exec, exec, s[4:5]
	s_waitcnt lgkmcnt(0)
	s_barrier
	ds_read2_b32 v[2:3], v37 offset1:121
	s_mov_b32 s4, 0xa3611655
	s_mov_b32 s5, 0x3f4e1709
	v_mad_u64_u32 v[4:5], s[0:1], s10, v16, 0
	s_waitcnt lgkmcnt(0)
	v_lshrrev_b32_e32 v7, 16, v2
	v_mul_f16_sdwa v0, v47, v7 dst_sel:DWORD dst_unused:UNUSED_PAD src0_sel:WORD_1 src1_sel:DWORD
	v_fma_f16 v0, v47, v2, v0
	v_cvt_f32_f16_e32 v0, v0
	s_movk_i32 s6, 0x1ff
	v_mad_u64_u32 v[5:6], s[0:1], s11, v16, v[5:6]
	v_cvt_f64_f32_e32 v[0:1], v0
	s_movk_i32 s7, 0xffe
	v_mul_f16_sdwa v2, v47, v2 dst_sel:DWORD dst_unused:UNUSED_PAD src0_sel:WORD_1 src1_sel:DWORD
	v_fma_f16 v2, v47, v7, -v2
	v_mul_f64 v[0:1], v[0:1], s[4:5]
	v_cvt_f32_f16_e32 v7, v2
	v_mov_b32_e32 v2, 0x7c00
	s_movk_i32 s10, 0x40f
	s_mov_b32 s11, 0x8000
	v_lshlrev_b64 v[4:5], 2, v[4:5]
	v_and_or_b32 v0, v1, s6, v0
	v_cmp_ne_u32_e32 vcc, 0, v0
	v_lshrrev_b32_e32 v6, 8, v1
	v_bfe_u32 v8, v1, 20, 11
	v_cndmask_b32_e64 v0, 0, 1, vcc
	v_sub_u32_e32 v9, 0x3f1, v8
	v_and_or_b32 v0, v6, s7, v0
	v_or_b32_e32 v6, 0x1000, v0
	v_med3_i32 v9, v9, 0, 13
	v_lshrrev_b32_e32 v10, v9, v6
	v_lshlrev_b32_e32 v9, v9, v10
	v_cmp_ne_u32_e32 vcc, v9, v6
	v_cndmask_b32_e64 v6, 0, 1, vcc
	v_add_u32_e32 v8, 0xfffffc10, v8
	v_or_b32_e32 v6, v10, v6
	v_lshl_or_b32 v9, v8, 12, v0
	v_cmp_gt_i32_e32 vcc, 1, v8
	v_cndmask_b32_e32 v6, v9, v6, vcc
	v_and_b32_e32 v9, 7, v6
	v_cmp_lt_i32_e32 vcc, 5, v9
	v_cmp_eq_u32_e64 s[0:1], 3, v9
	v_lshrrev_b32_e32 v6, 2, v6
	s_or_b64 vcc, s[0:1], vcc
	v_addc_co_u32_e32 v9, vcc, 0, v6, vcc
	v_cvt_f64_f32_e32 v[6:7], v7
	v_cmp_gt_i32_e32 vcc, 31, v8
	v_cndmask_b32_e32 v9, v2, v9, vcc
	v_cmp_ne_u32_e32 vcc, 0, v0
	v_mul_f64 v[6:7], v[6:7], s[4:5]
	v_cndmask_b32_e64 v0, 0, 1, vcc
	v_lshl_or_b32 v0, v0, 9, v2
	v_cmp_eq_u32_e32 vcc, s10, v8
	v_cndmask_b32_e32 v0, v9, v0, vcc
	v_lshrrev_b32_e32 v1, 16, v1
	v_and_or_b32 v10, v1, s11, v0
	v_and_b32_e32 v10, 0xffff, v10
	v_and_or_b32 v0, v7, s6, v6
	v_cmp_ne_u32_e32 vcc, 0, v0
	v_cndmask_b32_e64 v0, 0, 1, vcc
	v_lshrrev_b32_e32 v1, 8, v7
	v_bfe_u32 v6, v7, 20, 11
	v_and_or_b32 v0, v1, s7, v0
	v_sub_u32_e32 v8, 0x3f1, v6
	v_or_b32_e32 v1, 0x1000, v0
	v_med3_i32 v8, v8, 0, 13
	v_lshrrev_b32_e32 v9, v8, v1
	v_lshlrev_b32_e32 v8, v8, v9
	v_cmp_ne_u32_e32 vcc, v8, v1
	v_cndmask_b32_e64 v1, 0, 1, vcc
	v_add_u32_e32 v6, 0xfffffc10, v6
	v_or_b32_e32 v1, v9, v1
	v_lshl_or_b32 v8, v6, 12, v0
	v_cmp_gt_i32_e32 vcc, 1, v6
	v_cndmask_b32_e32 v1, v8, v1, vcc
	v_and_b32_e32 v8, 7, v1
	v_cmp_lt_i32_e32 vcc, 5, v8
	v_cmp_eq_u32_e64 s[0:1], 3, v8
	v_lshrrev_b32_e32 v1, 2, v1
	s_or_b64 vcc, s[0:1], vcc
	v_addc_co_u32_e32 v1, vcc, 0, v1, vcc
	v_cmp_gt_i32_e32 vcc, 31, v6
	v_cndmask_b32_e32 v1, v2, v1, vcc
	v_cmp_ne_u32_e32 vcc, 0, v0
	v_cndmask_b32_e64 v0, 0, 1, vcc
	v_lshl_or_b32 v0, v0, 9, v2
	v_cmp_eq_u32_e32 vcc, s10, v6
	v_cndmask_b32_e32 v11, v1, v0, vcc
	v_add_u32_e32 v0, 0x200, v37
	v_mad_u64_u32 v[8:9], s[0:1], s8, v46, 0
	ds_read2_b32 v[0:1], v0 offset0:114 offset1:235
	v_lshrrev_b32_e32 v12, 16, v7
	v_mov_b32_e32 v6, v9
	v_mad_u64_u32 v[6:7], s[0:1], s9, v46, v[6:7]
	s_waitcnt lgkmcnt(0)
	v_lshrrev_b32_e32 v13, 16, v1
	v_mul_f16_sdwa v7, v45, v13 dst_sel:DWORD dst_unused:UNUSED_PAD src0_sel:WORD_1 src1_sel:DWORD
	v_fma_f16 v7, v45, v1, v7
	v_cvt_f32_f16_e32 v7, v7
	v_mov_b32_e32 v9, v6
	v_and_or_b32 v11, v12, s11, v11
	v_lshl_or_b32 v10, v11, 16, v10
	v_cvt_f64_f32_e32 v[6:7], v7
	v_mov_b32_e32 v11, s3
	v_add_co_u32_e32 v12, vcc, s2, v4
	v_mul_f64 v[6:7], v[6:7], s[4:5]
	v_addc_co_u32_e32 v11, vcc, v11, v5, vcc
	v_lshlrev_b64 v[4:5], 2, v[8:9]
	v_mul_f16_sdwa v1, v45, v1 dst_sel:DWORD dst_unused:UNUSED_PAD src0_sel:WORD_1 src1_sel:DWORD
	v_add_co_u32_e32 v4, vcc, v12, v4
	v_addc_co_u32_e32 v5, vcc, v11, v5, vcc
	v_and_or_b32 v6, v7, s6, v6
	v_cmp_ne_u32_e32 vcc, 0, v6
	v_cndmask_b32_e64 v6, 0, 1, vcc
	v_lshrrev_b32_e32 v8, 8, v7
	v_bfe_u32 v9, v7, 20, 11
	global_store_dword v[4:5], v10, off
	v_and_or_b32 v6, v8, s7, v6
	v_sub_u32_e32 v10, 0x3f1, v9
	v_or_b32_e32 v8, 0x1000, v6
	v_med3_i32 v10, v10, 0, 13
	v_lshrrev_b32_e32 v11, v10, v8
	v_lshlrev_b32_e32 v10, v10, v11
	v_cmp_ne_u32_e32 vcc, v10, v8
	v_fma_f16 v1, v45, v13, -v1
	v_cndmask_b32_e64 v8, 0, 1, vcc
	v_add_u32_e32 v10, 0xfffffc10, v9
	v_cvt_f32_f16_e32 v1, v1
	v_or_b32_e32 v8, v11, v8
	v_lshl_or_b32 v9, v10, 12, v6
	v_cmp_gt_i32_e32 vcc, 1, v10
	v_cndmask_b32_e32 v8, v9, v8, vcc
	v_and_b32_e32 v9, 7, v8
	v_cmp_lt_i32_e32 vcc, 5, v9
	v_cmp_eq_u32_e64 s[0:1], 3, v9
	v_lshrrev_b32_e32 v11, 2, v8
	v_cvt_f64_f32_e32 v[8:9], v1
	s_or_b64 vcc, s[0:1], vcc
	v_addc_co_u32_e32 v1, vcc, 0, v11, vcc
	v_mul_f64 v[8:9], v[8:9], s[4:5]
	v_cmp_gt_i32_e32 vcc, 31, v10
	v_cndmask_b32_e32 v1, v2, v1, vcc
	v_cmp_ne_u32_e32 vcc, 0, v6
	v_cndmask_b32_e64 v6, 0, 1, vcc
	v_lshl_or_b32 v6, v6, 9, v2
	v_cmp_eq_u32_e32 vcc, s10, v10
	v_cndmask_b32_e32 v1, v1, v6, vcc
	v_lshrrev_b32_e32 v6, 16, v7
	v_and_or_b32 v1, v6, s11, v1
	v_and_or_b32 v6, v9, s6, v8
	v_cmp_ne_u32_e32 vcc, 0, v6
	v_cndmask_b32_e64 v6, 0, 1, vcc
	v_lshrrev_b32_e32 v7, 8, v9
	v_bfe_u32 v8, v9, 20, 11
	v_and_or_b32 v6, v7, s7, v6
	v_sub_u32_e32 v10, 0x3f1, v8
	v_or_b32_e32 v7, 0x1000, v6
	v_med3_i32 v10, v10, 0, 13
	v_lshrrev_b32_e32 v11, v10, v7
	v_lshlrev_b32_e32 v10, v10, v11
	v_cmp_ne_u32_e32 vcc, v10, v7
	v_cndmask_b32_e64 v7, 0, 1, vcc
	v_add_u32_e32 v8, 0xfffffc10, v8
	v_or_b32_e32 v7, v11, v7
	v_lshl_or_b32 v10, v8, 12, v6
	v_cmp_gt_i32_e32 vcc, 1, v8
	v_cndmask_b32_e32 v7, v10, v7, vcc
	v_and_b32_e32 v10, 7, v7
	v_cmp_lt_i32_e32 vcc, 5, v10
	v_cmp_eq_u32_e64 s[0:1], 3, v10
	v_lshrrev_b32_e32 v7, 2, v7
	s_or_b64 vcc, s[0:1], vcc
	v_addc_co_u32_e32 v7, vcc, 0, v7, vcc
	v_cmp_gt_i32_e32 vcc, 31, v8
	v_cndmask_b32_e32 v10, v2, v7, vcc
	v_cmp_ne_u32_e32 vcc, 0, v6
	v_add_u32_e32 v6, 0xa00, v37
	ds_read2_b32 v[6:7], v6 offset0:86 offset1:207
	v_cndmask_b32_e64 v11, 0, 1, vcc
	v_lshl_or_b32 v11, v11, 9, v2
	v_cmp_eq_u32_e32 vcc, s10, v8
	v_cndmask_b32_e32 v8, v10, v11, vcc
	s_waitcnt lgkmcnt(0)
	v_lshrrev_b32_e32 v10, 16, v6
	v_mul_f16_sdwa v11, v44, v10 dst_sel:DWORD dst_unused:UNUSED_PAD src0_sel:WORD_1 src1_sel:DWORD
	v_fma_f16 v11, v44, v6, v11
	v_cvt_f32_f16_e32 v11, v11
	v_lshrrev_b32_e32 v9, 16, v9
	v_and_or_b32 v8, v9, s11, v8
	v_and_b32_e32 v1, 0xffff, v1
	v_lshl_or_b32 v1, v8, 16, v1
	v_cvt_f64_f32_e32 v[8:9], v11
	s_mul_i32 s0, s9, 0x5ac
	s_mul_hi_u32 s2, s8, 0x5ac
	s_add_i32 s2, s2, s0
	v_mul_f64 v[8:9], v[8:9], s[4:5]
	s_mul_i32 s3, s8, 0x5ac
	v_mov_b32_e32 v11, s2
	v_add_co_u32_e32 v4, vcc, s3, v4
	v_addc_co_u32_e32 v5, vcc, v5, v11, vcc
	global_store_dword v[4:5], v1, off
	v_and_or_b32 v1, v9, s6, v8
	v_cmp_ne_u32_e32 vcc, 0, v1
	v_cndmask_b32_e64 v1, 0, 1, vcc
	v_lshrrev_b32_e32 v8, 8, v9
	v_bfe_u32 v11, v9, 20, 11
	v_and_or_b32 v1, v8, s7, v1
	v_sub_u32_e32 v12, 0x3f1, v11
	v_or_b32_e32 v8, 0x1000, v1
	v_med3_i32 v12, v12, 0, 13
	v_lshrrev_b32_e32 v13, v12, v8
	v_lshlrev_b32_e32 v12, v12, v13
	v_mul_f16_sdwa v6, v44, v6 dst_sel:DWORD dst_unused:UNUSED_PAD src0_sel:WORD_1 src1_sel:DWORD
	v_cmp_ne_u32_e32 vcc, v12, v8
	v_fma_f16 v6, v44, v10, -v6
	v_cndmask_b32_e64 v8, 0, 1, vcc
	v_add_u32_e32 v12, 0xfffffc10, v11
	v_cvt_f32_f16_e32 v6, v6
	v_or_b32_e32 v8, v13, v8
	v_lshl_or_b32 v11, v12, 12, v1
	v_cmp_gt_i32_e32 vcc, 1, v12
	v_cndmask_b32_e32 v8, v11, v8, vcc
	v_and_b32_e32 v11, 7, v8
	v_cmp_lt_i32_e32 vcc, 5, v11
	v_cmp_eq_u32_e64 s[0:1], 3, v11
	v_cvt_f64_f32_e32 v[10:11], v6
	v_lshrrev_b32_e32 v8, 2, v8
	s_or_b64 vcc, s[0:1], vcc
	v_addc_co_u32_e32 v6, vcc, 0, v8, vcc
	v_mul_f64 v[10:11], v[10:11], s[4:5]
	v_cmp_gt_i32_e32 vcc, 31, v12
	v_cndmask_b32_e32 v6, v2, v6, vcc
	v_cmp_ne_u32_e32 vcc, 0, v1
	v_cndmask_b32_e64 v1, 0, 1, vcc
	v_lshl_or_b32 v1, v1, 9, v2
	v_cmp_eq_u32_e32 vcc, s10, v12
	v_cndmask_b32_e32 v1, v6, v1, vcc
	v_lshrrev_b32_e32 v6, 16, v9
	v_and_or_b32 v1, v6, s11, v1
	v_and_or_b32 v6, v11, s6, v10
	v_cmp_ne_u32_e32 vcc, 0, v6
	v_cndmask_b32_e64 v6, 0, 1, vcc
	v_lshrrev_b32_e32 v8, 8, v11
	v_bfe_u32 v9, v11, 20, 11
	v_and_or_b32 v6, v8, s7, v6
	v_sub_u32_e32 v10, 0x3f1, v9
	v_or_b32_e32 v8, 0x1000, v6
	v_med3_i32 v10, v10, 0, 13
	v_lshrrev_b32_e32 v12, v10, v8
	v_lshlrev_b32_e32 v10, v10, v12
	v_cmp_ne_u32_e32 vcc, v10, v8
	v_cndmask_b32_e64 v8, 0, 1, vcc
	v_add_u32_e32 v9, 0xfffffc10, v9
	v_or_b32_e32 v8, v12, v8
	v_lshl_or_b32 v10, v9, 12, v6
	v_cmp_gt_i32_e32 vcc, 1, v9
	v_cndmask_b32_e32 v8, v10, v8, vcc
	v_and_b32_e32 v10, 7, v8
	v_cmp_lt_i32_e32 vcc, 5, v10
	v_cmp_eq_u32_e64 s[0:1], 3, v10
	v_lshrrev_b32_e32 v10, 16, v3
	v_lshrrev_b32_e32 v8, 2, v8
	s_or_b64 vcc, s[0:1], vcc
	v_mul_f16_sdwa v12, v43, v10 dst_sel:DWORD dst_unused:UNUSED_PAD src0_sel:WORD_1 src1_sel:DWORD
	v_addc_co_u32_e32 v8, vcc, 0, v8, vcc
	v_fma_f16 v12, v43, v3, v12
	v_cmp_gt_i32_e32 vcc, 31, v9
	v_cvt_f32_f16_e32 v12, v12
	v_cndmask_b32_e32 v8, v2, v8, vcc
	v_cmp_ne_u32_e32 vcc, 0, v6
	v_cndmask_b32_e64 v6, 0, 1, vcc
	v_lshl_or_b32 v6, v6, 9, v2
	v_cmp_eq_u32_e32 vcc, s10, v9
	v_cndmask_b32_e32 v6, v8, v6, vcc
	v_cvt_f64_f32_e32 v[8:9], v12
	v_lshrrev_b32_e32 v11, 16, v11
	v_and_or_b32 v6, v11, s11, v6
	v_and_b32_e32 v1, 0xffff, v1
	v_mul_f64 v[8:9], v[8:9], s[4:5]
	v_lshl_or_b32 v1, v6, 16, v1
	v_mov_b32_e32 v6, s2
	v_add_co_u32_e32 v4, vcc, s3, v4
	v_addc_co_u32_e32 v5, vcc, v5, v6, vcc
	global_store_dword v[4:5], v1, off
	v_and_or_b32 v1, v9, s6, v8
	v_cmp_ne_u32_e32 vcc, 0, v1
	v_cndmask_b32_e64 v1, 0, 1, vcc
	v_lshrrev_b32_e32 v6, 8, v9
	v_bfe_u32 v8, v9, 20, 11
	v_and_or_b32 v1, v6, s7, v1
	v_sub_u32_e32 v11, 0x3f1, v8
	v_or_b32_e32 v6, 0x1000, v1
	v_med3_i32 v11, v11, 0, 13
	v_lshrrev_b32_e32 v12, v11, v6
	v_lshlrev_b32_e32 v11, v11, v12
	v_mul_f16_sdwa v3, v43, v3 dst_sel:DWORD dst_unused:UNUSED_PAD src0_sel:WORD_1 src1_sel:DWORD
	v_cmp_ne_u32_e32 vcc, v11, v6
	v_fma_f16 v3, v43, v10, -v3
	v_cndmask_b32_e64 v6, 0, 1, vcc
	v_add_u32_e32 v8, 0xfffffc10, v8
	v_cvt_f32_f16_e32 v3, v3
	v_or_b32_e32 v6, v12, v6
	v_lshl_or_b32 v11, v8, 12, v1
	v_cmp_gt_i32_e32 vcc, 1, v8
	v_cndmask_b32_e32 v6, v11, v6, vcc
	v_and_b32_e32 v11, 7, v6
	v_cmp_lt_i32_e32 vcc, 5, v11
	v_cmp_eq_u32_e64 s[0:1], 3, v11
	v_cvt_f64_f32_e32 v[10:11], v3
	v_lshrrev_b32_e32 v6, 2, v6
	s_or_b64 vcc, s[0:1], vcc
	v_addc_co_u32_e32 v3, vcc, 0, v6, vcc
	v_mul_f64 v[10:11], v[10:11], s[4:5]
	v_cmp_gt_i32_e32 vcc, 31, v8
	v_cndmask_b32_e32 v3, v2, v3, vcc
	v_cmp_ne_u32_e32 vcc, 0, v1
	v_cndmask_b32_e64 v1, 0, 1, vcc
	v_lshl_or_b32 v1, v1, 9, v2
	v_cmp_eq_u32_e32 vcc, s10, v8
	v_cndmask_b32_e32 v1, v3, v1, vcc
	v_lshrrev_b32_e32 v3, 16, v9
	v_and_or_b32 v1, v3, s11, v1
	v_and_or_b32 v3, v11, s6, v10
	v_cmp_ne_u32_e32 vcc, 0, v3
	v_cndmask_b32_e64 v3, 0, 1, vcc
	v_lshrrev_b32_e32 v6, 8, v11
	v_bfe_u32 v8, v11, 20, 11
	v_and_or_b32 v3, v6, s7, v3
	v_sub_u32_e32 v9, 0x3f1, v8
	v_or_b32_e32 v6, 0x1000, v3
	v_med3_i32 v9, v9, 0, 13
	v_lshrrev_b32_e32 v10, v9, v6
	v_lshlrev_b32_e32 v9, v9, v10
	v_cmp_ne_u32_e32 vcc, v9, v6
	v_cndmask_b32_e64 v6, 0, 1, vcc
	v_or_b32_e32 v6, v10, v6
	v_add_u32_e32 v10, 0xfffffc10, v8
	v_lshl_or_b32 v8, v10, 12, v3
	v_cmp_gt_i32_e32 vcc, 1, v10
	v_cndmask_b32_e32 v6, v8, v6, vcc
	v_and_b32_e32 v8, 7, v6
	v_cmp_lt_i32_e32 vcc, 5, v8
	v_cmp_eq_u32_e64 s[0:1], 3, v8
	v_add_u32_e32 v8, 0x600, v37
	ds_read2_b32 v[8:9], v8 offset0:100 offset1:221
	v_lshrrev_b32_e32 v6, 2, v6
	s_or_b64 vcc, s[0:1], vcc
	v_addc_co_u32_e32 v6, vcc, 0, v6, vcc
	s_waitcnt lgkmcnt(0)
	v_lshrrev_b32_e32 v12, 16, v8
	v_mul_f16_sdwa v13, v42, v12 dst_sel:DWORD dst_unused:UNUSED_PAD src0_sel:WORD_1 src1_sel:DWORD
	v_fma_f16 v13, v42, v8, v13
	v_cmp_gt_i32_e32 vcc, 31, v10
	v_cvt_f32_f16_e32 v13, v13
	v_cndmask_b32_e32 v6, v2, v6, vcc
	v_cmp_ne_u32_e32 vcc, 0, v3
	v_cndmask_b32_e64 v3, 0, 1, vcc
	v_lshl_or_b32 v3, v3, 9, v2
	v_cmp_eq_u32_e32 vcc, s10, v10
	v_cndmask_b32_e32 v3, v6, v3, vcc
	v_lshrrev_b32_e32 v6, 16, v11
	v_cvt_f64_f32_e32 v[10:11], v13
	v_mov_b32_e32 v13, 0xfffff68c
	v_and_or_b32 v6, v6, s11, v3
	v_mad_u64_u32 v[3:4], s[0:1], s8, v13, v[4:5]
	v_mul_f64 v[10:11], v[10:11], s[4:5]
	s_mul_i32 s0, s9, 0xfffff68c
	v_and_b32_e32 v1, 0xffff, v1
	s_sub_i32 s9, s0, s8
	v_lshl_or_b32 v1, v6, 16, v1
	v_add_u32_e32 v4, s9, v4
	global_store_dword v[3:4], v1, off
	v_mul_f16_sdwa v8, v42, v8 dst_sel:DWORD dst_unused:UNUSED_PAD src0_sel:WORD_1 src1_sel:DWORD
	v_and_or_b32 v1, v11, s6, v10
	v_cmp_ne_u32_e32 vcc, 0, v1
	v_cndmask_b32_e64 v1, 0, 1, vcc
	v_lshrrev_b32_e32 v5, 8, v11
	v_bfe_u32 v6, v11, 20, 11
	v_and_or_b32 v1, v5, s7, v1
	v_sub_u32_e32 v10, 0x3f1, v6
	v_or_b32_e32 v5, 0x1000, v1
	v_med3_i32 v10, v10, 0, 13
	v_lshrrev_b32_e32 v14, v10, v5
	v_lshlrev_b32_e32 v10, v10, v14
	v_cmp_ne_u32_e32 vcc, v10, v5
	v_fma_f16 v8, v42, v12, -v8
	v_cndmask_b32_e64 v5, 0, 1, vcc
	v_add_u32_e32 v10, 0xfffffc10, v6
	v_cvt_f32_f16_e32 v8, v8
	v_or_b32_e32 v5, v14, v5
	v_lshl_or_b32 v6, v10, 12, v1
	v_cmp_gt_i32_e32 vcc, 1, v10
	v_cndmask_b32_e32 v5, v6, v5, vcc
	v_and_b32_e32 v6, 7, v5
	v_cmp_lt_i32_e32 vcc, 5, v6
	v_cmp_eq_u32_e64 s[0:1], 3, v6
	v_lshrrev_b32_e32 v12, 2, v5
	v_cvt_f64_f32_e32 v[5:6], v8
	s_or_b64 vcc, s[0:1], vcc
	v_addc_co_u32_e32 v8, vcc, 0, v12, vcc
	v_mul_f64 v[5:6], v[5:6], s[4:5]
	v_cmp_gt_i32_e32 vcc, 31, v10
	v_cndmask_b32_e32 v8, v2, v8, vcc
	v_cmp_ne_u32_e32 vcc, 0, v1
	v_cndmask_b32_e64 v1, 0, 1, vcc
	v_lshl_or_b32 v1, v1, 9, v2
	v_cmp_eq_u32_e32 vcc, s10, v10
	v_cndmask_b32_e32 v1, v8, v1, vcc
	v_and_or_b32 v5, v6, s6, v5
	v_lshrrev_b32_e32 v8, 16, v11
	v_cmp_ne_u32_e32 vcc, 0, v5
	v_and_or_b32 v1, v8, s11, v1
	v_cndmask_b32_e64 v5, 0, 1, vcc
	v_lshrrev_b32_e32 v8, 8, v6
	v_bfe_u32 v10, v6, 20, 11
	v_and_or_b32 v5, v8, s7, v5
	v_sub_u32_e32 v11, 0x3f1, v10
	v_or_b32_e32 v8, 0x1000, v5
	v_med3_i32 v11, v11, 0, 13
	v_lshrrev_b32_e32 v12, v11, v8
	v_lshlrev_b32_e32 v11, v11, v12
	v_cmp_ne_u32_e32 vcc, v11, v8
	v_cndmask_b32_e64 v8, 0, 1, vcc
	v_add_u32_e32 v10, 0xfffffc10, v10
	v_or_b32_e32 v8, v12, v8
	v_lshl_or_b32 v11, v10, 12, v5
	v_cmp_gt_i32_e32 vcc, 1, v10
	v_cndmask_b32_e32 v8, v11, v8, vcc
	v_and_b32_e32 v11, 7, v8
	v_lshrrev_b32_e32 v12, 16, v7
	v_cmp_lt_i32_e32 vcc, 5, v11
	v_cmp_eq_u32_e64 s[0:1], 3, v11
	v_mul_f16_sdwa v11, v41, v12 dst_sel:DWORD dst_unused:UNUSED_PAD src0_sel:WORD_1 src1_sel:DWORD
	v_fma_f16 v11, v41, v7, v11
	v_lshrrev_b32_e32 v8, 2, v8
	s_or_b64 vcc, s[0:1], vcc
	v_cvt_f32_f16_e32 v11, v11
	v_addc_co_u32_e32 v8, vcc, 0, v8, vcc
	v_cmp_gt_i32_e32 vcc, 31, v10
	v_cndmask_b32_e32 v8, v2, v8, vcc
	v_cmp_ne_u32_e32 vcc, 0, v5
	v_cndmask_b32_e64 v5, 0, 1, vcc
	v_cmp_eq_u32_e32 vcc, s10, v10
	v_cvt_f64_f32_e32 v[10:11], v11
	v_lshl_or_b32 v5, v5, 9, v2
	v_cndmask_b32_e32 v5, v8, v5, vcc
	v_lshrrev_b32_e32 v6, 16, v6
	v_and_or_b32 v8, v6, s11, v5
	v_mul_f64 v[5:6], v[10:11], s[4:5]
	v_and_b32_e32 v1, 0xffff, v1
	v_lshl_or_b32 v1, v8, 16, v1
	v_mov_b32_e32 v8, s2
	v_add_co_u32_e32 v3, vcc, s3, v3
	v_addc_co_u32_e32 v4, vcc, v4, v8, vcc
	global_store_dword v[3:4], v1, off
	v_and_or_b32 v1, v6, s6, v5
	v_cmp_ne_u32_e32 vcc, 0, v1
	v_cndmask_b32_e64 v1, 0, 1, vcc
	v_lshrrev_b32_e32 v5, 8, v6
	v_bfe_u32 v8, v6, 20, 11
	v_and_or_b32 v1, v5, s7, v1
	v_sub_u32_e32 v10, 0x3f1, v8
	v_or_b32_e32 v5, 0x1000, v1
	v_med3_i32 v10, v10, 0, 13
	v_lshrrev_b32_e32 v11, v10, v5
	v_lshlrev_b32_e32 v10, v10, v11
	v_mul_f16_sdwa v7, v41, v7 dst_sel:DWORD dst_unused:UNUSED_PAD src0_sel:WORD_1 src1_sel:DWORD
	v_cmp_ne_u32_e32 vcc, v10, v5
	v_fma_f16 v7, v41, v12, -v7
	v_cndmask_b32_e64 v5, 0, 1, vcc
	v_add_u32_e32 v10, 0xfffffc10, v8
	v_cvt_f32_f16_e32 v7, v7
	v_or_b32_e32 v5, v11, v5
	v_lshl_or_b32 v8, v10, 12, v1
	v_cmp_gt_i32_e32 vcc, 1, v10
	v_cndmask_b32_e32 v5, v8, v5, vcc
	v_and_b32_e32 v8, 7, v5
	v_cmp_lt_i32_e32 vcc, 5, v8
	v_cmp_eq_u32_e64 s[0:1], 3, v8
	v_cvt_f64_f32_e32 v[7:8], v7
	v_lshrrev_b32_e32 v5, 2, v5
	s_or_b64 vcc, s[0:1], vcc
	v_addc_co_u32_e32 v5, vcc, 0, v5, vcc
	v_mul_f64 v[7:8], v[7:8], s[4:5]
	v_cmp_gt_i32_e32 vcc, 31, v10
	v_cndmask_b32_e32 v5, v2, v5, vcc
	v_cmp_ne_u32_e32 vcc, 0, v1
	v_cndmask_b32_e64 v1, 0, 1, vcc
	v_lshl_or_b32 v1, v1, 9, v2
	v_cmp_eq_u32_e32 vcc, s10, v10
	v_cndmask_b32_e32 v1, v5, v1, vcc
	v_lshrrev_b32_e32 v5, 16, v6
	v_and_or_b32 v1, v5, s11, v1
	v_and_or_b32 v5, v8, s6, v7
	v_cmp_ne_u32_e32 vcc, 0, v5
	v_cndmask_b32_e64 v5, 0, 1, vcc
	v_lshrrev_b32_e32 v6, 8, v8
	v_bfe_u32 v7, v8, 20, 11
	v_and_or_b32 v5, v6, s7, v5
	v_sub_u32_e32 v10, 0x3f1, v7
	v_or_b32_e32 v6, 0x1000, v5
	v_med3_i32 v10, v10, 0, 13
	v_lshrrev_b32_e32 v11, v10, v6
	v_lshlrev_b32_e32 v10, v10, v11
	v_cmp_ne_u32_e32 vcc, v10, v6
	v_cndmask_b32_e64 v6, 0, 1, vcc
	v_add_u32_e32 v7, 0xfffffc10, v7
	v_or_b32_e32 v6, v11, v6
	v_lshl_or_b32 v10, v7, 12, v5
	v_cmp_gt_i32_e32 vcc, 1, v7
	v_cndmask_b32_e32 v6, v10, v6, vcc
	v_and_b32_e32 v10, 7, v6
	v_cmp_lt_i32_e32 vcc, 5, v10
	v_cmp_eq_u32_e64 s[0:1], 3, v10
	v_lshrrev_b32_e32 v10, 16, v0
	v_lshrrev_b32_e32 v6, 2, v6
	s_or_b64 vcc, s[0:1], vcc
	v_mul_f16_sdwa v11, v40, v10 dst_sel:DWORD dst_unused:UNUSED_PAD src0_sel:WORD_1 src1_sel:DWORD
	v_addc_co_u32_e32 v6, vcc, 0, v6, vcc
	v_fma_f16 v11, v40, v0, v11
	v_cmp_gt_i32_e32 vcc, 31, v7
	v_cvt_f32_f16_e32 v11, v11
	v_cndmask_b32_e32 v6, v2, v6, vcc
	v_cmp_ne_u32_e32 vcc, 0, v5
	v_cndmask_b32_e64 v5, 0, 1, vcc
	v_lshl_or_b32 v5, v5, 9, v2
	v_cmp_eq_u32_e32 vcc, s10, v7
	v_cndmask_b32_e32 v7, v6, v5, vcc
	v_cvt_f64_f32_e32 v[5:6], v11
	v_lshrrev_b32_e32 v8, 16, v8
	v_and_or_b32 v7, v8, s11, v7
	v_and_b32_e32 v1, 0xffff, v1
	v_mul_f64 v[5:6], v[5:6], s[4:5]
	v_lshl_or_b32 v1, v7, 16, v1
	v_mov_b32_e32 v7, s2
	v_add_co_u32_e32 v3, vcc, s3, v3
	v_addc_co_u32_e32 v4, vcc, v4, v7, vcc
	global_store_dword v[3:4], v1, off
	v_and_or_b32 v1, v6, s6, v5
	v_cmp_ne_u32_e32 vcc, 0, v1
	v_cndmask_b32_e64 v1, 0, 1, vcc
	v_lshrrev_b32_e32 v5, 8, v6
	v_bfe_u32 v7, v6, 20, 11
	v_and_or_b32 v5, v5, s7, v1
	v_sub_u32_e32 v8, 0x3f1, v7
	v_or_b32_e32 v1, 0x1000, v5
	v_med3_i32 v8, v8, 0, 13
	v_lshrrev_b32_e32 v11, v8, v1
	v_lshlrev_b32_e32 v8, v8, v11
	v_mul_f16_sdwa v0, v40, v0 dst_sel:DWORD dst_unused:UNUSED_PAD src0_sel:WORD_1 src1_sel:DWORD
	v_cmp_ne_u32_e32 vcc, v8, v1
	v_fma_f16 v0, v40, v10, -v0
	v_cndmask_b32_e64 v1, 0, 1, vcc
	v_add_u32_e32 v7, 0xfffffc10, v7
	v_cvt_f32_f16_e32 v0, v0
	v_or_b32_e32 v1, v11, v1
	v_lshl_or_b32 v8, v7, 12, v5
	v_cmp_gt_i32_e32 vcc, 1, v7
	v_cndmask_b32_e32 v1, v8, v1, vcc
	v_and_b32_e32 v8, 7, v1
	v_cmp_lt_i32_e32 vcc, 5, v8
	v_cmp_eq_u32_e64 s[0:1], 3, v8
	v_lshrrev_b32_e32 v8, 2, v1
	v_cvt_f64_f32_e32 v[0:1], v0
	s_or_b64 vcc, s[0:1], vcc
	v_addc_co_u32_e32 v8, vcc, 0, v8, vcc
	v_mul_f64 v[0:1], v[0:1], s[4:5]
	v_cmp_gt_i32_e32 vcc, 31, v7
	v_cndmask_b32_e32 v8, v2, v8, vcc
	v_cmp_ne_u32_e32 vcc, 0, v5
	v_cndmask_b32_e64 v5, 0, 1, vcc
	v_lshl_or_b32 v5, v5, 9, v2
	v_cmp_eq_u32_e32 vcc, s10, v7
	v_cndmask_b32_e32 v5, v8, v5, vcc
	v_and_or_b32 v0, v1, s6, v0
	v_lshrrev_b32_e32 v6, 16, v6
	v_cmp_ne_u32_e32 vcc, 0, v0
	v_and_or_b32 v7, v6, s11, v5
	v_cndmask_b32_e64 v0, 0, 1, vcc
	v_lshrrev_b32_e32 v5, 8, v1
	v_bfe_u32 v6, v1, 20, 11
	v_and_or_b32 v0, v5, s7, v0
	v_sub_u32_e32 v8, 0x3f1, v6
	v_or_b32_e32 v5, 0x1000, v0
	v_med3_i32 v8, v8, 0, 13
	v_lshrrev_b32_e32 v10, v8, v5
	v_lshlrev_b32_e32 v8, v8, v10
	v_cmp_ne_u32_e32 vcc, v8, v5
	v_cndmask_b32_e64 v5, 0, 1, vcc
	v_add_u32_e32 v8, 0xfffffc10, v6
	v_or_b32_e32 v5, v10, v5
	v_lshl_or_b32 v6, v8, 12, v0
	v_cmp_gt_i32_e32 vcc, 1, v8
	v_cndmask_b32_e32 v5, v6, v5, vcc
	v_and_b32_e32 v6, 7, v5
	v_cmp_lt_i32_e32 vcc, 5, v6
	v_cmp_eq_u32_e64 s[0:1], 3, v6
	v_lshrrev_b32_e32 v5, 2, v5
	s_or_b64 vcc, s[0:1], vcc
	v_addc_co_u32_e32 v5, vcc, 0, v5, vcc
	v_cmp_gt_i32_e32 vcc, 31, v8
	v_lshrrev_b32_e32 v11, 16, v9
	v_cndmask_b32_e32 v10, v2, v5, vcc
	v_mul_f16_sdwa v5, v39, v11 dst_sel:DWORD dst_unused:UNUSED_PAD src0_sel:WORD_1 src1_sel:DWORD
	v_fma_f16 v5, v39, v9, v5
	v_cvt_f32_f16_e32 v5, v5
	v_cmp_ne_u32_e32 vcc, 0, v0
	v_cndmask_b32_e64 v0, 0, 1, vcc
	v_lshl_or_b32 v0, v0, 9, v2
	v_cvt_f64_f32_e32 v[5:6], v5
	v_cmp_eq_u32_e32 vcc, s10, v8
	v_cndmask_b32_e32 v8, v10, v0, vcc
	v_lshrrev_b32_e32 v10, 16, v1
	v_mul_f64 v[0:1], v[5:6], s[4:5]
	v_mad_u64_u32 v[3:4], s[0:1], s8, v13, v[3:4]
	v_and_or_b32 v5, v10, s11, v8
	v_and_b32_e32 v6, 0xffff, v7
	v_lshl_or_b32 v5, v5, 16, v6
	v_add_u32_e32 v4, s9, v4
	global_store_dword v[3:4], v5, off
	v_and_or_b32 v0, v1, s6, v0
	v_cmp_ne_u32_e32 vcc, 0, v0
	v_cndmask_b32_e64 v0, 0, 1, vcc
	v_lshrrev_b32_e32 v5, 8, v1
	v_bfe_u32 v6, v1, 20, 11
	v_and_or_b32 v0, v5, s7, v0
	v_sub_u32_e32 v7, 0x3f1, v6
	v_or_b32_e32 v5, 0x1000, v0
	v_med3_i32 v7, v7, 0, 13
	v_lshrrev_b32_e32 v8, v7, v5
	v_lshlrev_b32_e32 v7, v7, v8
	v_cmp_ne_u32_e32 vcc, v7, v5
	v_cndmask_b32_e64 v5, 0, 1, vcc
	v_or_b32_e32 v5, v8, v5
	v_mul_f16_sdwa v8, v39, v9 dst_sel:DWORD dst_unused:UNUSED_PAD src0_sel:WORD_1 src1_sel:DWORD
	v_fma_f16 v8, v39, v11, -v8
	v_add_u32_e32 v7, 0xfffffc10, v6
	v_cvt_f32_f16_e32 v8, v8
	v_lshl_or_b32 v6, v7, 12, v0
	v_cmp_gt_i32_e32 vcc, 1, v7
	v_cndmask_b32_e32 v5, v6, v5, vcc
	v_and_b32_e32 v6, 7, v5
	v_cmp_lt_i32_e32 vcc, 5, v6
	v_cmp_eq_u32_e64 s[0:1], 3, v6
	v_lshrrev_b32_e32 v9, 2, v5
	v_cvt_f64_f32_e32 v[5:6], v8
	s_or_b64 vcc, s[0:1], vcc
	v_addc_co_u32_e32 v8, vcc, 0, v9, vcc
	v_mul_f64 v[5:6], v[5:6], s[4:5]
	v_cmp_gt_i32_e32 vcc, 31, v7
	v_cndmask_b32_e32 v8, v2, v8, vcc
	v_cmp_ne_u32_e32 vcc, 0, v0
	v_cndmask_b32_e64 v0, 0, 1, vcc
	v_lshl_or_b32 v0, v0, 9, v2
	v_cmp_eq_u32_e32 vcc, s10, v7
	v_cndmask_b32_e32 v0, v8, v0, vcc
	v_lshrrev_b32_e32 v1, 16, v1
	v_and_or_b32 v7, v1, s11, v0
	v_and_or_b32 v0, v6, s6, v5
	v_cmp_ne_u32_e32 vcc, 0, v0
	v_cndmask_b32_e64 v0, 0, 1, vcc
	v_lshrrev_b32_e32 v1, 8, v6
	v_bfe_u32 v5, v6, 20, 11
	v_and_or_b32 v0, v1, s7, v0
	v_sub_u32_e32 v8, 0x3f1, v5
	v_or_b32_e32 v1, 0x1000, v0
	v_med3_i32 v8, v8, 0, 13
	v_lshrrev_b32_e32 v9, v8, v1
	v_lshlrev_b32_e32 v8, v8, v9
	v_cmp_ne_u32_e32 vcc, v8, v1
	v_cndmask_b32_e64 v1, 0, 1, vcc
	v_add_u32_e32 v5, 0xfffffc10, v5
	v_or_b32_e32 v1, v9, v1
	v_lshl_or_b32 v8, v5, 12, v0
	v_cmp_gt_i32_e32 vcc, 1, v5
	v_cndmask_b32_e32 v1, v8, v1, vcc
	v_and_b32_e32 v8, 7, v1
	v_cmp_lt_i32_e32 vcc, 5, v8
	v_cmp_eq_u32_e64 s[0:1], 3, v8
	ds_read_b32 v8, v37 offset:3872
	v_lshrrev_b32_e32 v1, 2, v1
	s_or_b64 vcc, s[0:1], vcc
	v_addc_co_u32_e32 v1, vcc, 0, v1, vcc
	s_waitcnt lgkmcnt(0)
	v_lshrrev_b32_e32 v9, 16, v8
	v_mul_f16_sdwa v10, v38, v9 dst_sel:DWORD dst_unused:UNUSED_PAD src0_sel:WORD_1 src1_sel:DWORD
	v_fma_f16 v10, v38, v8, v10
	v_cmp_gt_i32_e32 vcc, 31, v5
	v_cvt_f32_f16_e32 v10, v10
	v_cndmask_b32_e32 v1, v2, v1, vcc
	v_cmp_ne_u32_e32 vcc, 0, v0
	v_cndmask_b32_e64 v0, 0, 1, vcc
	v_lshl_or_b32 v0, v0, 9, v2
	v_cmp_eq_u32_e32 vcc, s10, v5
	v_cndmask_b32_e32 v5, v1, v0, vcc
	v_cvt_f64_f32_e32 v[0:1], v10
	v_lshrrev_b32_e32 v6, 16, v6
	v_and_or_b32 v5, v6, s11, v5
	v_and_b32_e32 v6, 0xffff, v7
	v_mul_f64 v[0:1], v[0:1], s[4:5]
	v_lshl_or_b32 v5, v5, 16, v6
	v_mov_b32_e32 v6, s2
	v_add_co_u32_e32 v3, vcc, s3, v3
	v_addc_co_u32_e32 v4, vcc, v4, v6, vcc
	global_store_dword v[3:4], v5, off
	v_and_or_b32 v0, v1, s6, v0
	v_cmp_ne_u32_e32 vcc, 0, v0
	v_cndmask_b32_e64 v0, 0, 1, vcc
	v_lshrrev_b32_e32 v5, 8, v1
	v_bfe_u32 v6, v1, 20, 11
	v_and_or_b32 v0, v5, s7, v0
	v_sub_u32_e32 v7, 0x3f1, v6
	v_or_b32_e32 v5, 0x1000, v0
	v_med3_i32 v7, v7, 0, 13
	v_lshrrev_b32_e32 v10, v7, v5
	v_lshlrev_b32_e32 v7, v7, v10
	v_mul_f16_sdwa v8, v38, v8 dst_sel:DWORD dst_unused:UNUSED_PAD src0_sel:WORD_1 src1_sel:DWORD
	v_cmp_ne_u32_e32 vcc, v7, v5
	v_fma_f16 v8, v38, v9, -v8
	v_cndmask_b32_e64 v5, 0, 1, vcc
	v_add_u32_e32 v7, 0xfffffc10, v6
	v_cvt_f32_f16_e32 v8, v8
	v_or_b32_e32 v5, v10, v5
	v_lshl_or_b32 v6, v7, 12, v0
	v_cmp_gt_i32_e32 vcc, 1, v7
	v_cndmask_b32_e32 v5, v6, v5, vcc
	v_and_b32_e32 v6, 7, v5
	v_cmp_lt_i32_e32 vcc, 5, v6
	v_cmp_eq_u32_e64 s[0:1], 3, v6
	v_lshrrev_b32_e32 v9, 2, v5
	v_cvt_f64_f32_e32 v[5:6], v8
	s_or_b64 vcc, s[0:1], vcc
	v_addc_co_u32_e32 v8, vcc, 0, v9, vcc
	v_mul_f64 v[5:6], v[5:6], s[4:5]
	v_cmp_gt_i32_e32 vcc, 31, v7
	v_cndmask_b32_e32 v8, v2, v8, vcc
	v_cmp_ne_u32_e32 vcc, 0, v0
	v_cndmask_b32_e64 v0, 0, 1, vcc
	v_lshl_or_b32 v0, v0, 9, v2
	v_cmp_eq_u32_e32 vcc, s10, v7
	v_cndmask_b32_e32 v0, v8, v0, vcc
	v_lshrrev_b32_e32 v1, 16, v1
	v_and_or_b32 v0, v1, s11, v0
	v_and_or_b32 v1, v6, s6, v5
	v_cmp_ne_u32_e32 vcc, 0, v1
	v_cndmask_b32_e64 v1, 0, 1, vcc
	v_lshrrev_b32_e32 v5, 8, v6
	v_bfe_u32 v7, v6, 20, 11
	v_and_or_b32 v1, v5, s7, v1
	v_sub_u32_e32 v8, 0x3f1, v7
	v_or_b32_e32 v5, 0x1000, v1
	v_med3_i32 v8, v8, 0, 13
	v_lshrrev_b32_e32 v9, v8, v5
	v_lshlrev_b32_e32 v8, v8, v9
	v_cmp_ne_u32_e32 vcc, v8, v5
	v_cndmask_b32_e64 v5, 0, 1, vcc
	v_add_u32_e32 v7, 0xfffffc10, v7
	v_or_b32_e32 v5, v9, v5
	v_lshl_or_b32 v8, v7, 12, v1
	v_cmp_gt_i32_e32 vcc, 1, v7
	v_cndmask_b32_e32 v5, v8, v5, vcc
	v_and_b32_e32 v8, 7, v5
	v_cmp_lt_i32_e32 vcc, 5, v8
	v_cmp_eq_u32_e64 s[0:1], 3, v8
	v_lshrrev_b32_e32 v5, 2, v5
	s_or_b64 vcc, s[0:1], vcc
	v_addc_co_u32_e32 v5, vcc, 0, v5, vcc
	v_cmp_gt_i32_e32 vcc, 31, v7
	v_cndmask_b32_e32 v5, v2, v5, vcc
	v_cmp_ne_u32_e32 vcc, 0, v1
	v_cndmask_b32_e64 v1, 0, 1, vcc
	v_lshl_or_b32 v1, v1, 9, v2
	v_cmp_eq_u32_e32 vcc, s10, v7
	v_cndmask_b32_e32 v1, v5, v1, vcc
	v_lshrrev_b32_e32 v2, 16, v6
	v_and_or_b32 v1, v2, s11, v1
	v_and_b32_e32 v0, 0xffff, v0
	v_lshl_or_b32 v2, v1, 16, v0
	v_mov_b32_e32 v1, s2
	v_add_co_u32_e32 v0, vcc, s3, v3
	v_addc_co_u32_e32 v1, vcc, v4, v1, vcc
	global_store_dword v[0:1], v2, off
.LBB0_18:
	s_endpgm
	.section	.rodata,"a",@progbits
	.p2align	6, 0x0
	.amdhsa_kernel bluestein_single_back_len1089_dim1_half_op_CI_CI
		.amdhsa_group_segment_fixed_size 4356
		.amdhsa_private_segment_fixed_size 0
		.amdhsa_kernarg_size 104
		.amdhsa_user_sgpr_count 6
		.amdhsa_user_sgpr_private_segment_buffer 1
		.amdhsa_user_sgpr_dispatch_ptr 0
		.amdhsa_user_sgpr_queue_ptr 0
		.amdhsa_user_sgpr_kernarg_segment_ptr 1
		.amdhsa_user_sgpr_dispatch_id 0
		.amdhsa_user_sgpr_flat_scratch_init 0
		.amdhsa_user_sgpr_private_segment_size 0
		.amdhsa_uses_dynamic_stack 0
		.amdhsa_system_sgpr_private_segment_wavefront_offset 0
		.amdhsa_system_sgpr_workgroup_id_x 1
		.amdhsa_system_sgpr_workgroup_id_y 0
		.amdhsa_system_sgpr_workgroup_id_z 0
		.amdhsa_system_sgpr_workgroup_info 0
		.amdhsa_system_vgpr_workitem_id 0
		.amdhsa_next_free_vgpr 159
		.amdhsa_next_free_sgpr 25
		.amdhsa_reserve_vcc 1
		.amdhsa_reserve_flat_scratch 0
		.amdhsa_float_round_mode_32 0
		.amdhsa_float_round_mode_16_64 0
		.amdhsa_float_denorm_mode_32 3
		.amdhsa_float_denorm_mode_16_64 3
		.amdhsa_dx10_clamp 1
		.amdhsa_ieee_mode 1
		.amdhsa_fp16_overflow 0
		.amdhsa_exception_fp_ieee_invalid_op 0
		.amdhsa_exception_fp_denorm_src 0
		.amdhsa_exception_fp_ieee_div_zero 0
		.amdhsa_exception_fp_ieee_overflow 0
		.amdhsa_exception_fp_ieee_underflow 0
		.amdhsa_exception_fp_ieee_inexact 0
		.amdhsa_exception_int_div_zero 0
	.end_amdhsa_kernel
	.text
.Lfunc_end0:
	.size	bluestein_single_back_len1089_dim1_half_op_CI_CI, .Lfunc_end0-bluestein_single_back_len1089_dim1_half_op_CI_CI
                                        ; -- End function
	.section	.AMDGPU.csdata,"",@progbits
; Kernel info:
; codeLenInByte = 18996
; NumSgprs: 29
; NumVgprs: 159
; ScratchSize: 0
; MemoryBound: 0
; FloatMode: 240
; IeeeMode: 1
; LDSByteSize: 4356 bytes/workgroup (compile time only)
; SGPRBlocks: 3
; VGPRBlocks: 39
; NumSGPRsForWavesPerEU: 29
; NumVGPRsForWavesPerEU: 159
; Occupancy: 1
; WaveLimiterHint : 1
; COMPUTE_PGM_RSRC2:SCRATCH_EN: 0
; COMPUTE_PGM_RSRC2:USER_SGPR: 6
; COMPUTE_PGM_RSRC2:TRAP_HANDLER: 0
; COMPUTE_PGM_RSRC2:TGID_X_EN: 1
; COMPUTE_PGM_RSRC2:TGID_Y_EN: 0
; COMPUTE_PGM_RSRC2:TGID_Z_EN: 0
; COMPUTE_PGM_RSRC2:TIDIG_COMP_CNT: 0
	.type	__hip_cuid_cc21b11dfe35f216,@object ; @__hip_cuid_cc21b11dfe35f216
	.section	.bss,"aw",@nobits
	.globl	__hip_cuid_cc21b11dfe35f216
__hip_cuid_cc21b11dfe35f216:
	.byte	0                               ; 0x0
	.size	__hip_cuid_cc21b11dfe35f216, 1

	.ident	"AMD clang version 19.0.0git (https://github.com/RadeonOpenCompute/llvm-project roc-6.4.0 25133 c7fe45cf4b819c5991fe208aaa96edf142730f1d)"
	.section	".note.GNU-stack","",@progbits
	.addrsig
	.addrsig_sym __hip_cuid_cc21b11dfe35f216
	.amdgpu_metadata
---
amdhsa.kernels:
  - .args:
      - .actual_access:  read_only
        .address_space:  global
        .offset:         0
        .size:           8
        .value_kind:     global_buffer
      - .actual_access:  read_only
        .address_space:  global
        .offset:         8
        .size:           8
        .value_kind:     global_buffer
      - .actual_access:  read_only
        .address_space:  global
        .offset:         16
        .size:           8
        .value_kind:     global_buffer
      - .actual_access:  read_only
        .address_space:  global
        .offset:         24
        .size:           8
        .value_kind:     global_buffer
      - .actual_access:  read_only
        .address_space:  global
        .offset:         32
        .size:           8
        .value_kind:     global_buffer
      - .offset:         40
        .size:           8
        .value_kind:     by_value
      - .address_space:  global
        .offset:         48
        .size:           8
        .value_kind:     global_buffer
      - .address_space:  global
        .offset:         56
        .size:           8
        .value_kind:     global_buffer
      - .address_space:  global
        .offset:         64
        .size:           8
        .value_kind:     global_buffer
      - .address_space:  global
        .offset:         72
        .size:           8
        .value_kind:     global_buffer
      - .offset:         80
        .size:           4
        .value_kind:     by_value
      - .address_space:  global
        .offset:         88
        .size:           8
        .value_kind:     global_buffer
      - .address_space:  global
        .offset:         96
        .size:           8
        .value_kind:     global_buffer
    .group_segment_fixed_size: 4356
    .kernarg_segment_align: 8
    .kernarg_segment_size: 104
    .language:       OpenCL C
    .language_version:
      - 2
      - 0
    .max_flat_workgroup_size: 121
    .name:           bluestein_single_back_len1089_dim1_half_op_CI_CI
    .private_segment_fixed_size: 0
    .sgpr_count:     29
    .sgpr_spill_count: 0
    .symbol:         bluestein_single_back_len1089_dim1_half_op_CI_CI.kd
    .uniform_work_group_size: 1
    .uses_dynamic_stack: false
    .vgpr_count:     159
    .vgpr_spill_count: 0
    .wavefront_size: 64
amdhsa.target:   amdgcn-amd-amdhsa--gfx906
amdhsa.version:
  - 1
  - 2
...

	.end_amdgpu_metadata
